;; amdgpu-corpus repo=ROCm/rocFFT kind=compiled arch=gfx950 opt=O3
	.text
	.amdgcn_target "amdgcn-amd-amdhsa--gfx950"
	.amdhsa_code_object_version 6
	.protected	bluestein_single_back_len1666_dim1_half_op_CI_CI ; -- Begin function bluestein_single_back_len1666_dim1_half_op_CI_CI
	.globl	bluestein_single_back_len1666_dim1_half_op_CI_CI
	.p2align	8
	.type	bluestein_single_back_len1666_dim1_half_op_CI_CI,@function
bluestein_single_back_len1666_dim1_half_op_CI_CI: ; @bluestein_single_back_len1666_dim1_half_op_CI_CI
; %bb.0:
	s_load_dwordx4 s[8:11], s[0:1], 0x28
	v_mul_u32_u24_e32 v1, 0x227, v0
	v_mov_b32_e32 v19, 0
	v_add_u32_sdwa v20, s2, v1 dst_sel:DWORD dst_unused:UNUSED_PAD src0_sel:DWORD src1_sel:WORD_1
	v_mov_b32_e32 v21, v19
	s_waitcnt lgkmcnt(0)
	v_cmp_gt_u64_e32 vcc, s[8:9], v[20:21]
	s_and_saveexec_b64 s[2:3], vcc
	s_cbranch_execz .LBB0_15
; %bb.1:
	s_load_dwordx2 s[12:13], s[0:1], 0x0
	s_load_dwordx2 s[14:15], s[0:1], 0x38
	s_movk_i32 s2, 0x77
	v_mul_lo_u16_sdwa v1, v1, s2 dst_sel:DWORD dst_unused:UNUSED_PAD src0_sel:WORD_1 src1_sel:DWORD
	v_sub_u16_e32 v18, v0, v1
	s_movk_i32 s2, 0x62
	v_cmp_gt_u16_e64 s[2:3], s2, v18
	v_lshlrev_b32_e32 v16, 2, v18
	s_and_saveexec_b64 s[8:9], s[2:3]
	s_cbranch_execz .LBB0_3
; %bb.2:
	s_load_dwordx2 s[4:5], s[0:1], 0x18
	v_mov_b32_e32 v0, s10
	v_mov_b32_e32 v1, s11
	;; [unrolled: 1-line block ×3, first 2 shown]
	s_waitcnt lgkmcnt(0)
	s_load_dwordx4 s[4:7], s[4:5], 0x0
	s_waitcnt lgkmcnt(0)
	v_mad_u64_u32 v[2:3], s[10:11], s6, v20, 0
	v_mad_u64_u32 v[4:5], s[10:11], s4, v18, 0
	v_mov_b32_e32 v6, v3
	v_mov_b32_e32 v8, v5
	v_mad_u64_u32 v[6:7], s[6:7], s7, v20, v[6:7]
	v_mov_b32_e32 v3, v6
	v_mad_u64_u32 v[6:7], s[6:7], s5, v18, v[8:9]
	v_mov_b32_e32 v5, v6
	v_lshl_add_u64 v[0:1], v[2:3], 2, v[0:1]
	v_lshl_add_u64 v[0:1], v[4:5], 2, v[0:1]
	global_load_dword v4, v[0:1], off
	v_mov_b32_e32 v5, 0x188
	global_load_dword v6, v16, s[12:13]
	v_mad_u64_u32 v[0:1], s[6:7], s4, v5, v[0:1]
	s_mulk_i32 s5, 0x188
	v_add_u32_e32 v1, s5, v1
	global_load_dword v7, v[0:1], off
	global_load_dword v8, v16, s[12:13] offset:392
	v_mad_u64_u32 v[0:1], s[6:7], s4, v5, v[0:1]
	v_add_u32_e32 v1, s5, v1
	global_load_dword v9, v[0:1], off
	global_load_dword v10, v16, s[12:13] offset:784
	v_mad_u64_u32 v[0:1], s[6:7], s4, v5, v[0:1]
	;; [unrolled: 4-line block ×3, first 2 shown]
	v_add_u32_e32 v1, s5, v1
	global_load_dword v13, v16, s[12:13] offset:1568
	global_load_dword v14, v16, s[12:13] offset:1960
	;; [unrolled: 1-line block ×7, first 2 shown]
	global_load_dword v25, v[0:1], off
	s_movk_i32 s6, 0x1000
	v_lshl_add_u64 v[2:3], s[12:13], 0, v[16:17]
	v_add_co_u32_e32 v2, vcc, s6, v2
	v_mad_u64_u32 v[0:1], s[6:7], s4, v5, v[0:1]
	v_add_u32_e32 v1, s5, v1
	v_addc_co_u32_e32 v3, vcc, 0, v3, vcc
	global_load_dword v17, v[0:1], off
	global_load_dword v26, v[2:3], off offset:216
	global_load_dword v27, v[2:3], off offset:608
	;; [unrolled: 1-line block ×6, first 2 shown]
	v_mad_u64_u32 v[0:1], s[6:7], s4, v5, v[0:1]
	v_add_u32_e32 v1, s5, v1
	global_load_dword v2, v[0:1], off
	v_mad_u64_u32 v[0:1], s[6:7], s4, v5, v[0:1]
	v_add_u32_e32 v1, s5, v1
	global_load_dword v3, v[0:1], off
	;; [unrolled: 3-line block ×5, first 2 shown]
	v_mad_u64_u32 v[0:1], s[6:7], s4, v5, v[0:1]
	v_add_u32_e32 v1, s5, v1
	s_waitcnt vmcnt(27)
	v_lshrrev_b32_e32 v35, 16, v4
	s_waitcnt vmcnt(26)
	v_mul_f16_sdwa v36, v6, v4 dst_sel:DWORD dst_unused:UNUSED_PAD src0_sel:WORD_1 src1_sel:DWORD
	v_mul_f16_sdwa v37, v6, v35 dst_sel:DWORD dst_unused:UNUSED_PAD src0_sel:WORD_1 src1_sel:DWORD
	v_fma_f16 v35, v6, v35, -v36
	v_fma_f16 v4, v6, v4, v37
	s_waitcnt vmcnt(25)
	v_lshrrev_b32_e32 v6, 16, v7
	s_waitcnt vmcnt(24)
	v_mul_f16_sdwa v36, v8, v7 dst_sel:DWORD dst_unused:UNUSED_PAD src0_sel:WORD_1 src1_sel:DWORD
	v_pack_b32_f16 v4, v4, v35
	v_mul_f16_sdwa v35, v8, v6 dst_sel:DWORD dst_unused:UNUSED_PAD src0_sel:WORD_1 src1_sel:DWORD
	v_fma_f16 v6, v8, v6, -v36
	v_fma_f16 v7, v8, v7, v35
	v_pack_b32_f16 v6, v7, v6
	ds_write2_b32 v16, v4, v6 offset1:98
	global_load_dword v6, v[0:1], off
	s_waitcnt vmcnt(24)
	v_lshrrev_b32_e32 v8, 16, v9
	s_waitcnt vmcnt(23)
	v_mul_f16_sdwa v7, v10, v8 dst_sel:DWORD dst_unused:UNUSED_PAD src0_sel:WORD_1 src1_sel:DWORD
	v_mad_u64_u32 v[0:1], s[6:7], s4, v5, v[0:1]
	v_fma_f16 v4, v10, v9, v7
	v_mul_f16_sdwa v7, v10, v9 dst_sel:DWORD dst_unused:UNUSED_PAD src0_sel:WORD_1 src1_sel:DWORD
	v_add_u32_e32 v1, s5, v1
	v_fma_f16 v7, v10, v8, -v7
	global_load_dword v8, v[0:1], off
	v_mad_u64_u32 v[0:1], s[6:7], s4, v5, v[0:1]
	v_add_u32_e32 v1, s5, v1
	global_load_dword v10, v[0:1], off
	v_pack_b32_f16 v4, v4, v7
	s_waitcnt vmcnt(24)
	v_lshrrev_b32_e32 v7, 16, v11
	s_waitcnt vmcnt(23)
	v_mul_f16_sdwa v9, v12, v7 dst_sel:DWORD dst_unused:UNUSED_PAD src0_sel:WORD_1 src1_sel:DWORD
	v_mad_u64_u32 v[0:1], s[6:7], s4, v5, v[0:1]
	v_fma_f16 v9, v12, v11, v9
	v_mul_f16_sdwa v11, v12, v11 dst_sel:DWORD dst_unused:UNUSED_PAD src0_sel:WORD_1 src1_sel:DWORD
	v_add_u32_e32 v1, s5, v1
	v_fma_f16 v7, v12, v7, -v11
	global_load_dword v11, v[0:1], off
	v_mad_u64_u32 v[0:1], s[6:7], s4, v5, v[0:1]
	v_pack_b32_f16 v7, v9, v7
	v_add_u32_e32 v9, 0x200, v16
	v_add_u32_e32 v1, s5, v1
	ds_write2_b32 v9, v4, v7 offset0:68 offset1:166
	global_load_dword v7, v[0:1], off
	v_mad_u64_u32 v[0:1], s[6:7], s4, v5, v[0:1]
	v_add_u32_e32 v1, s5, v1
	global_load_dword v0, v[0:1], off
	s_waitcnt vmcnt(18)
	v_lshrrev_b32_e32 v4, 16, v25
	v_mul_f16_sdwa v9, v13, v4 dst_sel:DWORD dst_unused:UNUSED_PAD src0_sel:WORD_1 src1_sel:DWORD
	v_mul_f16_sdwa v12, v13, v25 dst_sel:DWORD dst_unused:UNUSED_PAD src0_sel:WORD_1 src1_sel:DWORD
	v_fma_f16 v9, v13, v25, v9
	v_fma_f16 v4, v13, v4, -v12
	v_pack_b32_f16 v1, v9, v4
	s_waitcnt vmcnt(17)
	v_lshrrev_b32_e32 v4, 16, v17
	v_mul_f16_sdwa v5, v14, v4 dst_sel:DWORD dst_unused:UNUSED_PAD src0_sel:WORD_1 src1_sel:DWORD
	v_mul_f16_sdwa v9, v14, v17 dst_sel:DWORD dst_unused:UNUSED_PAD src0_sel:WORD_1 src1_sel:DWORD
	v_fma_f16 v5, v14, v17, v5
	v_fma_f16 v4, v14, v4, -v9
	v_pack_b32_f16 v4, v5, v4
	v_add_u32_e32 v5, 0x400, v16
	ds_write2_b32 v5, v1, v4 offset0:136 offset1:234
	s_waitcnt vmcnt(10)
	v_lshrrev_b32_e32 v1, 16, v2
	v_mul_f16_sdwa v4, v15, v1 dst_sel:DWORD dst_unused:UNUSED_PAD src0_sel:WORD_1 src1_sel:DWORD
	v_fma_f16 v4, v15, v2, v4
	v_mul_f16_sdwa v2, v15, v2 dst_sel:DWORD dst_unused:UNUSED_PAD src0_sel:WORD_1 src1_sel:DWORD
	v_fma_f16 v1, v15, v1, -v2
	s_waitcnt vmcnt(9)
	v_lshrrev_b32_e32 v2, 16, v3
	v_pack_b32_f16 v1, v4, v1
	v_mul_f16_sdwa v4, v21, v2 dst_sel:DWORD dst_unused:UNUSED_PAD src0_sel:WORD_1 src1_sel:DWORD
	v_fma_f16 v4, v21, v3, v4
	v_mul_f16_sdwa v3, v21, v3 dst_sel:DWORD dst_unused:UNUSED_PAD src0_sel:WORD_1 src1_sel:DWORD
	v_fma_f16 v2, v21, v2, -v3
	v_pack_b32_f16 v2, v4, v2
	v_add_u32_e32 v3, 0x800, v16
	ds_write2_b32 v3, v1, v2 offset0:76 offset1:174
	s_waitcnt vmcnt(8)
	v_lshrrev_b32_e32 v1, 16, v32
	v_mul_f16_sdwa v2, v22, v1 dst_sel:DWORD dst_unused:UNUSED_PAD src0_sel:WORD_1 src1_sel:DWORD
	v_mul_f16_sdwa v3, v22, v32 dst_sel:DWORD dst_unused:UNUSED_PAD src0_sel:WORD_1 src1_sel:DWORD
	v_fma_f16 v2, v22, v32, v2
	v_fma_f16 v1, v22, v1, -v3
	v_pack_b32_f16 v1, v2, v1
	s_waitcnt vmcnt(7)
	v_lshrrev_b32_e32 v2, 16, v33
	v_mul_f16_sdwa v3, v23, v2 dst_sel:DWORD dst_unused:UNUSED_PAD src0_sel:WORD_1 src1_sel:DWORD
	v_mul_f16_sdwa v4, v23, v33 dst_sel:DWORD dst_unused:UNUSED_PAD src0_sel:WORD_1 src1_sel:DWORD
	v_fma_f16 v3, v23, v33, v3
	v_fma_f16 v2, v23, v2, -v4
	v_pack_b32_f16 v2, v3, v2
	v_add_u32_e32 v3, 0xc00, v16
	ds_write2_b32 v3, v1, v2 offset0:16 offset1:114
	s_waitcnt vmcnt(6)
	v_lshrrev_b32_e32 v1, 16, v34
	v_mul_f16_sdwa v2, v24, v1 dst_sel:DWORD dst_unused:UNUSED_PAD src0_sel:WORD_1 src1_sel:DWORD
	v_mul_f16_sdwa v3, v24, v34 dst_sel:DWORD dst_unused:UNUSED_PAD src0_sel:WORD_1 src1_sel:DWORD
	v_fma_f16 v2, v24, v34, v2
	v_fma_f16 v1, v24, v1, -v3
	v_pack_b32_f16 v1, v2, v1
	s_waitcnt vmcnt(5)
	v_lshrrev_b32_e32 v2, 16, v6
	v_mul_f16_sdwa v3, v26, v2 dst_sel:DWORD dst_unused:UNUSED_PAD src0_sel:WORD_1 src1_sel:DWORD
	v_mul_f16_sdwa v4, v26, v6 dst_sel:DWORD dst_unused:UNUSED_PAD src0_sel:WORD_1 src1_sel:DWORD
	v_fma_f16 v3, v26, v6, v3
	;; [unrolled: 16-line block ×4, first 2 shown]
	v_fma_f16 v2, v30, v2, -v4
	v_pack_b32_f16 v2, v3, v2
	v_add_u32_e32 v3, 0x1400, v16
	ds_write2_b32 v3, v1, v2 offset0:92 offset1:190
	s_waitcnt vmcnt(0)
	v_lshrrev_b32_e32 v1, 16, v0
	v_mul_f16_sdwa v2, v31, v1 dst_sel:DWORD dst_unused:UNUSED_PAD src0_sel:WORD_1 src1_sel:DWORD
	v_fma_f16 v2, v31, v0, v2
	v_mul_f16_sdwa v0, v31, v0 dst_sel:DWORD dst_unused:UNUSED_PAD src0_sel:WORD_1 src1_sel:DWORD
	v_fma_f16 v0, v31, v1, -v0
	v_pack_b32_f16 v0, v2, v0
	ds_write_b32 v16, v0 offset:6272
.LBB0_3:
	s_or_b64 exec, exec, s[8:9]
	s_load_dwordx2 s[6:7], s[0:1], 0x20
	s_load_dwordx2 s[4:5], s[0:1], 0x8
	v_mov_b32_e32 v0, 0
	s_waitcnt lgkmcnt(0)
	s_barrier
	s_waitcnt lgkmcnt(0)
                                        ; implicit-def: $vgpr14
                                        ; implicit-def: $vgpr32
                                        ; implicit-def: $vgpr33
                                        ; implicit-def: $vgpr38
                                        ; implicit-def: $vgpr35
                                        ; implicit-def: $vgpr13
                                        ; implicit-def: $vgpr36
                                        ; implicit-def: $vgpr37
                                        ; implicit-def: $vgpr11
                                        ; implicit-def: $vgpr34
                                        ; implicit-def: $vgpr27
                                        ; implicit-def: $vgpr9
                                        ; implicit-def: $vgpr28
                                        ; implicit-def: $vgpr29
                                        ; implicit-def: $vgpr7
                                        ; implicit-def: $vgpr30
                                        ; implicit-def: $vgpr31
                                        ; implicit-def: $vgpr5
                                        ; implicit-def: $vgpr17
                                        ; implicit-def: $vgpr21
                                        ; implicit-def: $vgpr3
                                        ; implicit-def: $vgpr24
                                        ; implicit-def: $vgpr25
                                        ; implicit-def: $vgpr26
	s_and_saveexec_b64 s[0:1], s[2:3]
	s_cbranch_execz .LBB0_5
; %bb.4:
	v_add_u32_e32 v2, 0x200, v16
	v_add_u32_e32 v4, 0x400, v16
	v_add_u32_e32 v6, 0x800, v16
	v_add_u32_e32 v8, 0xc00, v16
	v_add_u32_e32 v10, 0xe00, v16
	v_add_u32_e32 v12, 0x1000, v16
	v_add_u32_e32 v14, 0x1400, v16
	ds_read2_b32 v[0:1], v16 offset1:98
	ds_read2_b32 v[2:3], v2 offset0:68 offset1:166
	ds_read2_b32 v[4:5], v4 offset0:136 offset1:234
	;; [unrolled: 1-line block ×7, first 2 shown]
	ds_read_b32 v38, v16 offset:6272
	s_waitcnt lgkmcnt(8)
	v_lshrrev_b32_e32 v26, 16, v1
	s_waitcnt lgkmcnt(7)
	v_lshrrev_b32_e32 v25, 16, v2
	v_lshrrev_b32_e32 v24, 16, v3
	s_waitcnt lgkmcnt(6)
	v_lshrrev_b32_e32 v21, 16, v4
	;; [unrolled: 3-line block ×8, first 2 shown]
.LBB0_5:
	s_or_b64 exec, exec, s[0:1]
	v_sub_f16_e32 v92, v26, v35
	v_add_f16_e32 v42, v38, v1
	s_movk_i32 s9, 0x39e9
	v_mul_f16_e32 v39, 0xb964, v92
	v_sub_f16_e32 v101, v25, v33
	v_fma_f16 v22, v42, s9, v39
	s_movk_i32 s10, 0x3722
	v_mul_f16_e32 v44, 0xbb29, v92
	v_add_f16_e32 v45, v15, v2
	s_movk_i32 s16, 0x2de8
	v_mul_f16_e32 v40, 0xbbf7, v101
	v_add_f16_e32 v22, v22, v0
	v_fma_f16 v23, v42, s10, v44
	v_fma_f16 v41, v45, s16, v40
	s_mov_b32 s11, 0xb8d2
	v_mul_f16_e32 v51, 0xba62, v101
	v_add_f16_e32 v23, v23, v0
	v_add_f16_e32 v22, v41, v22
	v_fma_f16 v41, v45, s11, v51
	v_sub_f16_e32 v107, v24, v32
	v_add_f16_e32 v23, v41, v23
	v_add_f16_e32 v52, v14, v3
	v_mul_f16_e32 v41, 0xba62, v107
	v_fma_f16 v43, v52, s11, v41
	s_mov_b32 s17, 0xbbdd
	v_mul_f16_e32 v53, 0x31e1, v107
	v_add_f16_e32 v22, v43, v22
	v_fma_f16 v43, v52, s17, v53
	v_sub_f16_e32 v113, v21, v36
	v_add_f16_e32 v23, v43, v23
	v_add_f16_e32 v54, v13, v4
	v_mul_f16_e32 v43, 0xb1e1, v113
	v_fma_f16 v46, v54, s17, v43
	s_mov_b32 s18, 0xb461
	v_mul_f16_e32 v57, 0x3bb2, v113
	v_sub_f16_e32 v118, v17, v37
	v_add_f16_e32 v22, v46, v22
	v_fma_f16 v46, v54, s18, v57
	v_add_f16_e32 v56, v12, v5
	s_mov_b32 s19, 0xbacd
	v_mul_f16_e32 v50, 0x3836, v118
	v_add_f16_e32 v23, v46, v23
	v_fma_f16 v46, v56, s19, v50
	v_mul_f16_e32 v62, 0x3964, v118
	v_sub_f16_e32 v121, v31, v34
	v_add_f16_e32 v22, v46, v22
	v_fma_f16 v46, v56, s9, v62
	v_add_f16_e32 v59, v11, v6
	v_mul_f16_e32 v55, 0x3bb2, v121
	s_movk_i32 s8, 0x3b76
	v_add_f16_e32 v23, v46, v23
	v_fma_f16 v46, v59, s18, v55
	v_mul_f16_e32 v65, 0xb5c8, v121
	v_sub_f16_e32 v124, v30, v27
	v_add_f16_e32 v22, v46, v22
	v_fma_f16 v46, v59, s8, v65
	v_add_f16_e32 v64, v10, v7
	v_mul_f16_e32 v58, 0x3b29, v124
	v_add_f16_e32 v23, v46, v23
	v_fma_f16 v46, v64, s10, v58
	v_mul_f16_e32 v71, 0xbbf7, v124
	v_sub_f16_e32 v125, v29, v28
	v_add_f16_e32 v22, v46, v22
	v_fma_f16 v46, v64, s16, v71
	v_add_f16_e32 v68, v9, v8
	v_mul_f16_e32 v63, 0x35c8, v125
	v_add_f16_e32 v46, v46, v23
	v_fma_f16 v23, v68, s8, v63
	v_mul_f16_e32 v75, 0xb836, v125
	v_add_f16_e32 v23, v23, v22
	v_fma_f16 v22, v68, s19, v75
	;; [unrolled: 3-line block ×3, first 2 shown]
	v_mul_f16_e32 v61, 0xb964, v101
	v_sub_f16_e32 v106, v1, v38
	v_add_f16_e32 v46, v46, v0
	v_fma_f16 v47, v45, s9, v61
	v_add_f16_e32 v89, v35, v26
	v_mul_f16_e32 v66, 0xb5c8, v106
	v_sub_f16_e32 v109, v2, v15
	v_add_f16_e32 v46, v47, v46
	v_fma_f16 v47, v89, s8, -v66
	v_add_f16_e32 v88, v33, v25
	v_mul_f16_e32 v69, 0xb964, v109
	v_add_f16_sdwa v47, v47, v0 dst_sel:DWORD dst_unused:UNUSED_PAD src0_sel:DWORD src1_sel:WORD_1
	v_fma_f16 v48, v88, s9, -v69
	v_mul_f16_e32 v79, 0xb964, v106
	v_add_f16_e32 v47, v48, v47
	v_fma_f16 v48, v89, s9, -v79
	v_mul_f16_e32 v78, 0xbbf7, v109
	v_add_f16_sdwa v48, v48, v0 dst_sel:DWORD dst_unused:UNUSED_PAD src0_sel:DWORD src1_sel:WORD_1
	v_fma_f16 v49, v88, s16, -v78
	v_mul_f16_e32 v102, 0xbb29, v106
	v_add_f16_e32 v48, v49, v48
	v_fma_f16 v49, v89, s10, -v102
	v_mul_f16_e32 v103, 0xba62, v109
	v_add_f16_sdwa v49, v49, v0 dst_sel:DWORD dst_unused:UNUSED_PAD src0_sel:DWORD src1_sel:WORD_1
	v_fma_f16 v67, v88, s11, -v103
	v_add_f16_e32 v49, v67, v49
	v_mul_f16_e32 v67, 0xbb29, v107
	v_sub_f16_e32 v112, v3, v14
	v_fma_f16 v70, v52, s10, v67
	v_add_f16_e32 v91, v32, v24
	v_mul_f16_e32 v72, 0xbb29, v112
	v_add_f16_e32 v46, v70, v46
	v_fma_f16 v70, v91, s10, -v72
	v_mul_f16_e32 v81, 0xba62, v112
	v_add_f16_e32 v47, v70, v47
	v_fma_f16 v70, v91, s11, -v81
	v_mul_f16_e32 v104, 0x31e1, v112
	v_add_f16_e32 v48, v70, v48
	v_fma_f16 v70, v91, s17, -v104
	v_add_f16_e32 v49, v70, v49
	v_mul_f16_e32 v70, 0xbbf7, v113
	v_sub_f16_e32 v116, v4, v13
	v_fma_f16 v73, v54, s16, v70
	v_add_f16_e32 v93, v36, v21
	v_mul_f16_e32 v74, 0xbbf7, v116
	v_add_f16_e32 v46, v73, v46
	v_fma_f16 v73, v93, s16, -v74
	v_mul_f16_e32 v84, 0xb1e1, v116
	v_add_f16_e32 v47, v73, v47
	v_fma_f16 v73, v93, s17, -v84
	v_mul_f16_e32 v108, 0x3bb2, v116
	v_add_f16_e32 v48, v73, v48
	;; [unrolled: 14-line block ×6, first 2 shown]
	v_fma_f16 v48, v100, s19, -v117
	v_add_f16_e32 v48, v48, v97
	s_mov_b32 s27, 0xb5c8
	s_mov_b32 s31, 0xb964
	;; [unrolled: 1-line block ×5, first 2 shown]
	s_movk_i32 s36, 0x31e1
	s_mov_b32 s25, 0xb1e1
	s_movk_i32 s23, 0x3bb2
	s_mov_b32 s30, 0xbbb2
	s_movk_i32 s29, 0x3836
	s_movk_i32 s21, 0x3964
	s_mov_b32 s22, 0xb836
	s_movk_i32 s33, 0x3b29
	s_movk_i32 s26, 0x35c8
	s_barrier
	s_and_saveexec_b64 s[0:1], s[2:3]
	s_cbranch_execz .LBB0_7
; %bb.6:
	v_mul_f16_e32 v126, 0x2de8, v89
	s_movk_i32 s34, 0x3bf7
	v_fma_f16 v97, v106, s34, v126
	v_mul_f16_e32 v127, 0xbbdd, v88
	v_add_f16_sdwa v97, v97, v0 dst_sel:DWORD dst_unused:UNUSED_PAD src0_sel:DWORD src1_sel:WORD_1
	v_fma_f16 v105, v109, s36, v127
	v_mul_f16_e32 v128, 0xb461, v91
	v_add_f16_e32 v97, v105, v97
	v_fma_f16 v105, v112, s30, v128
	v_mul_f16_e32 v129, 0x3b76, v93
	v_add_f16_e32 v97, v105, v97
	;; [unrolled: 3-line block ×15, first 2 shown]
	v_fma_f16 v111, v106, s23, v142
	v_mul_f16_e32 v143, 0xbacd, v88
	v_add_f16_sdwa v111, v111, v0 dst_sel:DWORD dst_unused:UNUSED_PAD src0_sel:DWORD src1_sel:WORD_1
	v_fma_f16 v144, v109, s22, v143
	v_add_f16_e32 v111, v144, v111
	v_mul_f16_e32 v144, 0x39e9, v91
	v_fma_f16 v145, v112, s31, v144
	v_add_f16_e32 v111, v145, v111
	v_mul_f16_e32 v145, 0x3722, v93
	;; [unrolled: 3-line block ×5, first 2 shown]
	v_fma_f16 v149, v122, s26, v148
	v_add_f16_e32 v111, v149, v111
	s_movk_i32 s35, 0x3a62
	v_mul_f16_e32 v149, 0xb8d2, v100
	v_fma_f16 v150, v123, s35, v149
	v_add_f16_e32 v111, v150, v111
	v_mul_f16_e32 v150, 0xbbb2, v92
	v_fma_f16 v151, v42, s18, v150
	v_mul_f16_e32 v152, 0x3836, v101
	v_add_f16_e32 v151, v151, v0
	v_fma_f16 v153, v45, s19, v152
	v_add_f16_e32 v151, v153, v151
	v_mul_f16_e32 v153, 0x3964, v107
	v_fma_f16 v154, v52, s9, v153
	v_add_f16_e32 v151, v154, v151
	v_mul_f16_e32 v154, 0xbb29, v113
	v_fma_f16 v155, v54, s10, v154
	v_add_f16_e32 v151, v155, v151
	v_mul_f16_e32 v155, 0xb1e1, v118
	v_fma_f16 v156, v56, s17, v155
	v_add_f16_e32 v151, v156, v151
	v_mul_f16_e32 v156, 0x3bf7, v121
	v_fma_f16 v157, v59, s16, v156
	v_add_f16_e32 v151, v157, v151
	v_mul_f16_e32 v157, 0xb5c8, v124
	v_fma_f16 v158, v64, s8, v157
	v_add_f16_e32 v151, v158, v151
	v_mul_f16_e32 v158, 0xba62, v125
	v_fma_f16 v159, v68, s11, v158
	v_add_f16_e32 v151, v159, v151
	v_mul_f16_e32 v159, 0xb8d2, v89
	v_fma_f16 v160, v106, s35, v159
	v_mul_f16_e32 v161, 0xb461, v88
	v_add_f16_sdwa v160, v160, v0 dst_sel:DWORD dst_unused:UNUSED_PAD src0_sel:DWORD src1_sel:WORD_1
	v_fma_f16 v162, v109, s30, v161
	v_add_f16_e32 v160, v162, v160
	v_mul_f16_e32 v162, 0x3b76, v91
	v_fma_f16 v163, v112, s26, v162
	v_add_f16_e32 v160, v163, v160
	v_mul_f16_e32 v163, 0xbacd, v93
	v_fma_f16 v164, v116, s29, v163
	v_add_f16_e32 v160, v164, v160
	v_mul_f16_e32 v164, 0x2de8, v94
	v_fma_f16 v165, v119, s24, v164
	v_add_f16_e32 v160, v165, v160
	v_mul_f16_e32 v165, 0x39e9, v96
	v_fma_f16 v166, v120, s21, v165
	v_add_f16_e32 v160, v166, v160
	v_mul_f16_e32 v166, 0xbbdd, v98
	v_fma_f16 v167, v122, s36, v166
	v_add_f16_e32 v160, v167, v160
	v_mul_f16_e32 v167, 0x3722, v100
	v_fma_f16 v168, v123, s20, v167
	v_add_f16_e32 v160, v168, v160
	v_mul_f16_e32 v168, 0xba62, v92
	v_fma_f16 v169, v42, s11, v168
	v_mul_f16_e32 v170, 0x3bb2, v101
	v_add_f16_e32 v169, v169, v0
	v_fma_f16 v171, v45, s18, v170
	v_add_f16_e32 v169, v171, v169
	v_mul_f16_e32 v171, 0xb5c8, v107
	v_fma_f16 v172, v52, s8, v171
	v_add_f16_e32 v169, v172, v169
	v_mul_f16_e32 v172, 0xb836, v113
	v_fma_f16 v173, v54, s19, v172
	v_add_f16_e32 v169, v173, v169
	v_mul_f16_e32 v173, 0x3bf7, v118
	v_fma_f16 v174, v56, s16, v173
	v_add_f16_e32 v169, v174, v169
	v_mul_f16_e32 v174, 0xb964, v121
	v_fma_f16 v175, v59, s9, v174
	v_add_f16_e32 v169, v175, v169
	v_mul_f16_e32 v175, 0xb1e1, v124
	v_fma_f16 v176, v64, s17, v175
	v_add_f16_e32 v169, v176, v169
	v_mul_f16_e32 v176, 0x3b29, v125
	v_fma_f16 v177, v68, s10, v176
	v_add_f16_e32 v169, v177, v169
	v_mul_f16_e32 v177, 0xbacd, v89
	v_fma_f16 v178, v106, s29, v177
	v_mul_f16_e32 v179, 0x3722, v88
	v_add_f16_sdwa v178, v178, v0 dst_sel:DWORD dst_unused:UNUSED_PAD src0_sel:DWORD src1_sel:WORD_1
	v_fma_f16 v180, v109, s20, v179
	v_add_f16_e32 v178, v180, v178
	v_mul_f16_e32 v180, 0x2de8, v91
	v_fma_f16 v181, v112, s34, v180
	v_add_f16_e32 v178, v181, v178
	v_mul_f16_e32 v181, 0xb8d2, v93
	v_fma_f16 v182, v116, s28, v181
	v_add_f16_e32 v178, v182, v178
	v_mul_f16_e32 v182, 0x3b76, v94
	v_fma_f16 v183, v119, s26, v182
	v_add_f16_e32 v178, v183, v178
	v_mul_f16_e32 v183, 0xbbdd, v96
	v_fma_f16 v184, v120, s36, v183
	v_add_f16_e32 v178, v184, v178
	v_mul_f16_e32 v184, 0x39e9, v98
	v_fma_f16 v185, v122, s31, v184
	v_add_f16_e32 v178, v185, v178
	;; [unrolled: 48-line block ×3, first 2 shown]
	v_mul_f16_e32 v203, 0x2de8, v100
	v_fma_f16 v204, v123, s24, v203
	v_mul_f16_e32 v92, 0xb1e1, v92
	v_add_f16_e32 v196, v204, v196
	v_fma_f16 v204, v42, s17, v92
	v_mul_f16_e32 v101, 0x35c8, v101
	v_fma_f16 v92, v42, s17, -v92
	v_fma_f16 v205, v45, s8, v101
	v_mul_f16_e32 v107, 0xb836, v107
	v_add_f16_e32 v92, v92, v0
	v_fma_f16 v101, v45, s8, -v101
	v_mul_f16_e32 v113, 0x3964, v113
	v_add_f16_e32 v92, v101, v92
	v_fma_f16 v101, v52, s19, -v107
	;; [unrolled: 3-line block ×6, first 2 shown]
	v_add_f16_e32 v92, v101, v92
	v_fma_f16 v101, v68, s16, -v125
	v_add_f16_e32 v204, v204, v0
	v_add_f16_e32 v92, v101, v92
	v_fma_f16 v101, v106, s22, v177
	v_add_f16_e32 v204, v205, v204
	v_fma_f16 v205, v52, s19, v107
	v_add_f16_sdwa v101, v101, v0 dst_sel:DWORD dst_unused:UNUSED_PAD src0_sel:DWORD src1_sel:WORD_1
	v_fma_f16 v107, v109, s33, v179
	v_add_f16_e32 v101, v107, v101
	v_fma_f16 v107, v112, s24, v180
	v_add_f16_e32 v101, v107, v101
	v_fma_f16 v107, v116, s35, v181
	v_add_f16_e32 v101, v107, v101
	v_fma_f16 v107, v119, s27, v182
	v_add_f16_e32 v101, v107, v101
	v_fma_f16 v107, v120, s25, v183
	v_add_f16_e32 v101, v107, v101
	v_fma_f16 v107, v122, s21, v184
	v_add_f16_e32 v101, v107, v101
	v_fma_f16 v107, v123, s30, v185
	v_add_f16_e32 v101, v107, v101
	v_fma_f16 v107, v42, s19, -v186
	v_add_f16_e32 v204, v205, v204
	v_fma_f16 v205, v54, s9, v113
	v_add_f16_e32 v107, v107, v0
	v_fma_f16 v113, v45, s10, -v188
	v_add_f16_e32 v107, v113, v107
	v_fma_f16 v113, v52, s16, -v189
	;; [unrolled: 2-line block ×7, first 2 shown]
	v_add_f16_e32 v107, v113, v107
	v_fma_f16 v113, v106, s28, v159
	v_add_f16_e32 v204, v205, v204
	v_fma_f16 v205, v56, s11, v118
	v_add_f16_sdwa v113, v113, v0 dst_sel:DWORD dst_unused:UNUSED_PAD src0_sel:DWORD src1_sel:WORD_1
	v_fma_f16 v118, v109, s23, v161
	v_add_f16_e32 v113, v118, v113
	v_fma_f16 v118, v112, s27, v162
	v_add_f16_e32 v113, v118, v113
	;; [unrolled: 2-line block ×7, first 2 shown]
	v_fma_f16 v118, v42, s11, -v168
	v_add_f16_e32 v204, v205, v204
	v_fma_f16 v205, v59, s10, v121
	v_add_f16_e32 v118, v118, v0
	v_fma_f16 v121, v45, s18, -v170
	v_add_f16_e32 v118, v121, v118
	v_fma_f16 v121, v52, s8, -v171
	;; [unrolled: 2-line block ×7, first 2 shown]
	v_fma_f16 v195, v106, s25, v195
	v_add_f16_e32 v118, v121, v118
	v_fma_f16 v121, v106, s30, v142
	v_fma_f16 v106, v106, s24, v126
	v_add_f16_e32 v204, v205, v204
	v_fma_f16 v205, v64, s18, v124
	v_fma_f16 v197, v109, s26, v197
	;; [unrolled: 1-line block ×4, first 2 shown]
	v_add_f16_sdwa v106, v106, v0 dst_sel:DWORD dst_unused:UNUSED_PAD src0_sel:DWORD src1_sel:WORD_1
	v_add_f16_e32 v106, v109, v106
	v_fma_f16 v109, v112, s23, v128
	v_add_f16_e32 v106, v109, v106
	v_fma_f16 v109, v116, s26, v129
	;; [unrolled: 2-line block ×6, first 2 shown]
	v_add_f16_sdwa v195, v195, v0 dst_sel:DWORD dst_unused:UNUSED_PAD src0_sel:DWORD src1_sel:WORD_1
	v_add_f16_sdwa v121, v121, v0 dst_sel:DWORD dst_unused:UNUSED_PAD src0_sel:DWORD src1_sel:WORD_1
	v_add_f16_e32 v106, v109, v106
	v_fma_f16 v109, v42, s16, -v134
	v_add_f16_e32 v195, v197, v195
	v_fma_f16 v197, v112, s22, v198
	v_add_f16_e32 v121, v124, v121
	v_fma_f16 v124, v112, s21, v144
	v_add_f16_e32 v109, v109, v0
	v_fma_f16 v112, v45, s17, -v135
	v_add_f16_e32 v109, v112, v109
	v_fma_f16 v112, v52, s18, -v136
	;; [unrolled: 2-line block ×7, first 2 shown]
	v_add_f16_e32 v109, v112, v109
	v_mul_f16_e32 v112, 0x3722, v89
	v_add_f16_e32 v102, v102, v112
	v_mul_f16_e32 v112, 0xb8d2, v88
	v_add_f16_e32 v103, v103, v112
	v_add_f16_sdwa v102, v102, v0 dst_sel:DWORD dst_unused:UNUSED_PAD src0_sel:DWORD src1_sel:WORD_1
	v_add_f16_e32 v102, v103, v102
	v_mul_f16_e32 v103, 0xbbdd, v91
	v_add_f16_e32 v103, v104, v103
	v_add_f16_e32 v102, v103, v102
	v_mul_f16_e32 v103, 0xb461, v93
	v_add_f16_e32 v103, v108, v103
	;; [unrolled: 3-line block ×3, first 2 shown]
	v_add_f16_e32 v121, v124, v121
	v_fma_f16 v124, v116, s20, v145
	v_add_f16_e32 v102, v103, v102
	v_mul_f16_e32 v103, 0x3b76, v96
	v_add_f16_e32 v121, v124, v121
	v_fma_f16 v124, v119, s25, v146
	v_add_f16_e32 v103, v114, v103
	v_add_f16_e32 v121, v124, v121
	v_fma_f16 v124, v120, s34, v147
	v_add_f16_e32 v102, v103, v102
	v_mul_f16_e32 v103, 0x2de8, v98
	v_add_f16_e32 v121, v124, v121
	v_fma_f16 v124, v122, s27, v148
	v_add_f16_e32 v103, v115, v103
	v_add_f16_e32 v121, v124, v121
	v_fma_f16 v124, v123, s28, v149
	v_add_f16_e32 v102, v103, v102
	v_mul_f16_e32 v103, 0xbacd, v100
	v_add_f16_e32 v121, v124, v121
	v_fma_f16 v124, v42, s18, -v150
	v_mul_f16_e32 v104, 0x3b76, v42
	v_mul_f16_e32 v110, 0x39e9, v42
	v_mul_f16_e32 v42, 0x3722, v42
	v_add_f16_e32 v103, v117, v103
	v_add_f16_e32 v204, v205, v204
	v_fma_f16 v205, v68, s16, v125
	v_fma_f16 v125, v45, s19, -v152
	v_mul_f16_e32 v112, 0x39e9, v45
	v_add_f16_e32 v102, v103, v102
	v_mul_f16_e32 v103, 0x2de8, v45
	v_mul_f16_e32 v45, 0xb8d2, v45
	v_sub_f16_e32 v42, v42, v44
	v_add_f16_e32 v124, v124, v0
	v_sub_f16_e32 v45, v45, v51
	v_add_f16_e32 v42, v42, v0
	v_add_f16_e32 v124, v125, v124
	v_fma_f16 v125, v52, s9, -v153
	v_mul_f16_e32 v44, 0x3722, v52
	v_add_f16_e32 v42, v45, v42
	v_mul_f16_e32 v45, 0xb8d2, v52
	v_mul_f16_e32 v52, 0xbbdd, v52
	v_sub_f16_e32 v52, v52, v53
	v_add_f16_e32 v42, v52, v42
	v_mul_f16_e32 v52, 0xb461, v54
	v_sub_f16_e32 v52, v52, v57
	v_add_f16_e32 v42, v52, v42
	;; [unrolled: 3-line block ×3, first 2 shown]
	v_mul_f16_e32 v52, 0x3b76, v59
	v_sub_f16_e32 v52, v52, v65
	v_sub_f16_e32 v39, v110, v39
	v_add_f16_e32 v42, v52, v42
	v_mul_f16_e32 v52, 0x2de8, v64
	v_add_f16_e32 v39, v39, v0
	v_sub_f16_e32 v40, v103, v40
	v_add_f16_e32 v124, v125, v124
	v_fma_f16 v125, v54, s10, -v154
	v_mul_f16_e32 v53, 0x2de8, v54
	v_mul_f16_e32 v54, 0xbbdd, v54
	v_sub_f16_e32 v52, v52, v71
	v_add_f16_e32 v39, v40, v39
	v_sub_f16_e32 v40, v45, v41
	v_add_f16_e32 v124, v125, v124
	v_fma_f16 v125, v56, s17, -v155
	v_mul_f16_e32 v62, 0xb461, v56
	v_mul_f16_e32 v56, 0xbacd, v56
	v_add_f16_e32 v42, v52, v42
	v_mul_f16_e32 v52, 0xbacd, v68
	v_add_f16_e32 v39, v40, v39
	v_sub_f16_e32 v40, v54, v43
	v_add_f16_e32 v124, v125, v124
	v_fma_f16 v125, v59, s16, -v156
	v_mul_f16_e32 v71, 0xb8d2, v59
	v_sub_f16_e32 v52, v52, v75
	v_mul_f16_e32 v59, 0xb461, v59
	v_add_f16_e32 v39, v40, v39
	v_sub_f16_e32 v40, v56, v50
	v_add_f16_e32 v124, v125, v124
	v_fma_f16 v125, v64, s8, -v157
	v_mul_f16_e32 v114, 0x39e9, v88
	v_mul_f16_e32 v88, 0x2de8, v88
	v_add_f16_e32 v42, v52, v42
	v_mul_f16_e32 v52, 0xbacd, v64
	v_mul_f16_e32 v64, 0x3722, v64
	v_add_f16_e32 v39, v40, v39
	v_sub_f16_e32 v40, v59, v55
	v_add_f16_e32 v124, v125, v124
	v_fma_f16 v125, v68, s11, -v158
	v_add_f16_e32 v78, v78, v88
	v_mul_f16_e32 v88, 0xbbdd, v68
	v_mul_f16_e32 v68, 0x3b76, v68
	v_add_f16_e32 v39, v40, v39
	v_sub_f16_e32 v40, v64, v58
	v_mul_f16_e32 v108, 0x3b76, v89
	v_add_f16_e32 v39, v40, v39
	v_sub_f16_e32 v40, v68, v63
	v_add_f16_e32 v39, v40, v39
	v_add_f16_e32 v40, v66, v108
	v_mul_f16_e32 v51, 0x3722, v91
	v_add_f16_sdwa v40, v40, v0 dst_sel:DWORD dst_unused:UNUSED_PAD src0_sel:DWORD src1_sel:WORD_1
	v_add_f16_e32 v41, v69, v114
	v_mul_f16_e32 v57, 0x2de8, v93
	v_add_f16_e32 v40, v41, v40
	v_add_f16_e32 v41, v72, v51
	v_mul_f16_e32 v89, 0x39e9, v89
	v_mul_f16_e32 v65, 0xb461, v94
	v_add_f16_e32 v40, v41, v40
	v_add_f16_e32 v41, v74, v57
	v_mul_f16_e32 v75, 0xb8d2, v96
	v_add_f16_e32 v79, v79, v89
	v_add_f16_e32 v40, v41, v40
	;; [unrolled: 1-line block ×3, first 2 shown]
	v_mul_f16_e32 v89, 0xbacd, v98
	v_add_f16_sdwa v79, v79, v0 dst_sel:DWORD dst_unused:UNUSED_PAD src0_sel:DWORD src1_sel:WORD_1
	v_add_f16_e32 v40, v41, v40
	v_add_f16_e32 v41, v82, v75
	;; [unrolled: 1-line block ×3, first 2 shown]
	v_mul_f16_e32 v79, 0xbbdd, v100
	v_add_f16_e32 v40, v41, v40
	v_add_f16_e32 v41, v85, v89
	;; [unrolled: 1-line block ×5, first 2 shown]
	v_sub_f16_e32 v41, v104, v60
	v_add_f16_e32 v41, v41, v0
	v_add_f16_e32 v1, v1, v0
	v_add_f16_sdwa v0, v26, v0 dst_sel:DWORD dst_unused:UNUSED_PAD src0_sel:DWORD src1_sel:WORD_1
	v_add_f16_e32 v1, v2, v1
	v_add_f16_e32 v0, v25, v0
	;; [unrolled: 1-line block ×14, first 2 shown]
	v_sub_f16_e32 v43, v112, v61
	v_add_f16_e32 v1, v9, v1
	v_add_f16_e32 v0, v28, v0
	v_mul_f16_e32 v91, 0xb8d2, v91
	v_add_f16_e32 v41, v43, v41
	v_sub_f16_e32 v43, v44, v67
	v_add_f16_e32 v1, v10, v1
	v_add_f16_e32 v0, v27, v0
	v_mul_f16_e32 v93, 0xbbdd, v93
	v_add_f16_e32 v81, v81, v91
	v_add_f16_e32 v41, v43, v41
	v_sub_f16_e32 v43, v53, v70
	v_add_f16_e32 v1, v11, v1
	v_add_f16_e32 v0, v34, v0
	v_mul_f16_e32 v94, 0xbacd, v94
	v_add_f16_e32 v78, v81, v78
	v_add_f16_e32 v81, v84, v93
	v_add_f16_e32 v41, v43, v41
	v_sub_f16_e32 v43, v62, v73
	v_add_f16_e32 v1, v12, v1
	v_add_f16_e32 v0, v37, v0
	v_mul_f16_e32 v96, 0xb461, v96
	v_add_f16_e32 v78, v81, v78
	;; [unrolled: 7-line block ×3, first 2 shown]
	v_add_f16_e32 v81, v90, v96
	v_add_f16_e32 v41, v43, v41
	v_sub_f16_e32 v43, v52, v80
	v_add_f16_e32 v1, v14, v1
	v_add_f16_e32 v0, v32, v0
	;; [unrolled: 1-line block ×3, first 2 shown]
	v_fma_f16 v197, v116, s21, v199
	v_mul_f16_e32 v100, 0x3b76, v100
	v_add_f16_e32 v78, v81, v78
	v_add_f16_e32 v81, v95, v98
	;; [unrolled: 1-line block ×3, first 2 shown]
	v_sub_f16_e32 v43, v88, v83
	v_add_f16_e32 v1, v15, v1
	v_add_f16_e32 v0, v33, v0
	;; [unrolled: 1-line block ×3, first 2 shown]
	v_fma_f16 v197, v119, s28, v200
	v_add_f16_e32 v78, v81, v78
	v_add_f16_e32 v81, v99, v100
	;; [unrolled: 1-line block ×5, first 2 shown]
	v_mul_lo_u16_e32 v2, 17, v18
	v_add_f16_e32 v195, v197, v195
	v_fma_f16 v197, v120, s33, v201
	v_add_f16_e32 v78, v81, v78
	v_lshlrev_b32_e32 v2, 2, v2
	v_pack_b32_f16 v3, v41, v40
	v_pack_b32_f16 v0, v1, v0
	v_add_f16_e32 v195, v197, v195
	v_fma_f16 v197, v122, s30, v202
	v_add_f16_e32 v124, v125, v124
	ds_write2_b32 v2, v0, v3 offset1:1
	v_pack_b32_f16 v0, v42, v102
	v_pack_b32_f16 v1, v39, v78
	v_add_f16_e32 v195, v197, v195
	v_fma_f16 v197, v123, s34, v203
	ds_write2_b32 v2, v1, v0 offset0:2 offset1:3
	v_pack_b32_f16 v0, v124, v121
	v_pack_b32_f16 v1, v109, v106
	v_add_f16_e32 v204, v205, v204
	v_add_f16_e32 v195, v197, v195
	ds_write2_b32 v2, v1, v0 offset0:4 offset1:5
	v_pack_b32_f16 v0, v107, v101
	v_pack_b32_f16 v1, v118, v113
	ds_write2_b32 v2, v1, v0 offset0:6 offset1:7
	v_pack_b32_f16 v0, v204, v196
	v_pack_b32_f16 v1, v92, v195
	;; [unrolled: 3-line block ×4, first 2 shown]
	s_mov_b32 s8, 0x5040100
	ds_write2_b32 v2, v1, v0 offset0:12 offset1:13
	v_perm_b32 v0, v47, v23, s8
	v_perm_b32 v1, v48, v22, s8
	ds_write2_b32 v2, v1, v0 offset0:14 offset1:15
	v_perm_b32 v0, v46, v49, s8
	ds_write_b32 v2, v0 offset:64
.LBB0_7:
	s_or_b64 exec, exec, s[0:1]
	s_mov_b64 s[0:1], 0xee
	v_lshl_add_u64 v[0:1], v[18:19], 0, s[0:1]
	s_mov_b64 s[0:1], 0x165
	v_lshl_add_u64 v[2:3], v[18:19], 0, s[0:1]
	;; [unrolled: 2-line block ×5, first 2 shown]
	s_movk_i32 s0, 0xf1
	v_add_u16_e32 v26, 0x77, v18
	v_mul_lo_u16_sdwa v14, v18, s0 dst_sel:DWORD dst_unused:UNUSED_PAD src0_sel:BYTE_0 src1_sel:DWORD
	v_mul_lo_u16_sdwa v27, v26, s0 dst_sel:DWORD dst_unused:UNUSED_PAD src0_sel:BYTE_0 src1_sel:DWORD
	s_mov_b32 s0, 0xf0f1
	v_lshrrev_b16_e32 v15, 12, v14
	v_mul_u32_u24_sdwa v5, v0, s0 dst_sel:DWORD dst_unused:UNUSED_PAD src0_sel:WORD_0 src1_sel:DWORD
	v_mul_lo_u16_e32 v1, 17, v15
	v_lshrrev_b32_e32 v29, 20, v5
	v_sub_u16_e32 v1, v18, v1
	v_lshrrev_b16_e32 v25, 12, v27
	v_mul_lo_u16_e32 v5, 17, v29
	v_and_b32_e32 v24, 0xff, v1
	v_mul_lo_u16_e32 v3, 17, v25
	v_sub_u16_e32 v30, v0, v5
	v_mul_u32_u24_sdwa v5, v2, s0 dst_sel:DWORD dst_unused:UNUSED_PAD src0_sel:WORD_0 src1_sel:DWORD
	v_lshlrev_b32_e32 v1, 2, v24
	v_sub_u16_e32 v3, v26, v3
	v_lshlrev_b32_e32 v0, 2, v30
	v_lshrrev_b32_e32 v31, 20, v5
	s_load_dwordx4 s[8:11], s[6:7], 0x0
	s_waitcnt lgkmcnt(0)
	s_barrier
	v_and_b32_e32 v28, 0xff, v3
	global_load_dword v50, v1, s[4:5]
	global_load_dword v52, v0, s[4:5]
	v_mul_lo_u16_e32 v1, 17, v31
	v_lshlrev_b32_e32 v3, 2, v28
	v_sub_u16_e32 v32, v2, v1
	v_mul_u32_u24_sdwa v2, v4, s0 dst_sel:DWORD dst_unused:UNUSED_PAD src0_sel:WORD_0 src1_sel:DWORD
	global_load_dword v51, v3, s[4:5]
	v_lshrrev_b32_e32 v33, 20, v2
	v_mul_lo_u16_e32 v2, 17, v33
	v_sub_u16_e32 v34, v4, v2
	v_mul_u32_u24_sdwa v2, v6, s0 dst_sel:DWORD dst_unused:UNUSED_PAD src0_sel:WORD_0 src1_sel:DWORD
	v_lshlrev_b32_e32 v1, 2, v32
	v_lshlrev_b32_e32 v0, 2, v34
	v_lshrrev_b32_e32 v35, 20, v2
	global_load_dword v53, v1, s[4:5]
	global_load_dword v54, v0, s[4:5]
	v_mul_lo_u16_e32 v1, 17, v35
	v_sub_u16_e32 v36, v6, v1
	v_mul_u32_u24_sdwa v1, v8, s0 dst_sel:DWORD dst_unused:UNUSED_PAD src0_sel:WORD_0 src1_sel:DWORD
	v_lshlrev_b32_e32 v0, 2, v36
	v_lshrrev_b32_e32 v37, 20, v1
	global_load_dword v55, v0, s[4:5]
	v_mul_lo_u16_e32 v0, 17, v37
	v_sub_u16_e32 v38, v8, v0
	v_lshlrev_b32_e32 v0, 2, v38
	global_load_dword v56, v0, s[4:5]
	v_mov_b32_e32 v0, 2
	v_lshlrev_b32_sdwa v21, v0, v18 dst_sel:DWORD dst_unused:UNUSED_PAD src0_sel:DWORD src1_sel:WORD_0
	v_add_u32_e32 v17, 0xa00, v21
	ds_read2_b32 v[2:3], v17 offset0:74 offset1:193
	v_add_u32_e32 v19, 0xe00, v21
	ds_read2_b32 v[4:5], v19 offset0:56 offset1:175
	;; [unrolled: 2-line block ×3, first 2 shown]
	s_waitcnt lgkmcnt(2)
	v_lshrrev_b32_e32 v40, 16, v3
	v_add_u32_e32 v82, 0x1600, v21
	s_waitcnt lgkmcnt(1)
	v_lshrrev_b32_e32 v42, 16, v4
	v_lshrrev_b32_e32 v44, 16, v5
	ds_read2_b32 v[12:13], v82 offset0:20 offset1:139
	s_waitcnt lgkmcnt(1)
	v_lshrrev_b32_e32 v57, 16, v8
	v_lshrrev_b32_e32 v59, 16, v9
	ds_read2_b32 v[0:1], v21 offset1:119
	v_add_u32_e32 v83, 0x600, v21
	s_waitcnt lgkmcnt(1)
	v_lshrrev_b32_e32 v61, 16, v12
	v_add_u32_e32 v80, 0x200, v21
	ds_read2_b32 v[10:11], v83 offset0:92 offset1:211
	v_lshrrev_b32_e32 v63, 16, v13
	ds_read2_b32 v[6:7], v80 offset0:110 offset1:229
	s_waitcnt lgkmcnt(2)
	v_lshrrev_b32_e32 v39, 16, v0
	v_mul_lo_u16_e32 v15, 34, v15
	v_lshrrev_b32_e32 v41, 16, v1
	v_and_b32_e32 v15, 0xfe, v15
	s_waitcnt lgkmcnt(1)
	v_lshrrev_b32_e32 v58, 16, v10
	s_waitcnt lgkmcnt(0)
	v_lshrrev_b32_e32 v43, 16, v6
	s_barrier
	v_lshrrev_b32_e32 v45, 16, v7
	v_lshrrev_b32_e32 v60, 16, v11
	;; [unrolled: 1-line block ×3, first 2 shown]
	s_mov_b32 s6, 0xbcab
	s_movk_i32 s7, 0x39e0
	s_mov_b32 s17, 0xb9e0
	s_movk_i32 s18, 0x3574
	;; [unrolled: 2-line block ×3, first 2 shown]
	s_waitcnt vmcnt(6)
	v_mul_f16_sdwa v64, v40, v50 dst_sel:DWORD dst_unused:UNUSED_PAD src0_sel:DWORD src1_sel:WORD_1
	v_fma_f16 v64, v3, v50, -v64
	v_mul_f16_sdwa v3, v3, v50 dst_sel:DWORD dst_unused:UNUSED_PAD src0_sel:DWORD src1_sel:WORD_1
	v_fma_f16 v3, v40, v50, v3
	v_sub_f16_e32 v3, v39, v3
	v_fma_f16 v39, v39, 2.0, -v3
	s_waitcnt vmcnt(4)
	v_mul_f16_sdwa v40, v42, v51 dst_sel:DWORD dst_unused:UNUSED_PAD src0_sel:DWORD src1_sel:WORD_1
	v_fma_f16 v40, v4, v51, -v40
	v_mul_f16_sdwa v4, v4, v51 dst_sel:DWORD dst_unused:UNUSED_PAD src0_sel:DWORD src1_sel:WORD_1
	v_fma_f16 v4, v42, v51, v4
	v_mul_f16_sdwa v42, v44, v52 dst_sel:DWORD dst_unused:UNUSED_PAD src0_sel:DWORD src1_sel:WORD_1
	v_fma_f16 v42, v5, v52, -v42
	v_mul_f16_sdwa v5, v5, v52 dst_sel:DWORD dst_unused:UNUSED_PAD src0_sel:DWORD src1_sel:WORD_1
	v_fma_f16 v5, v44, v52, v5
	s_waitcnt vmcnt(3)
	v_mul_f16_sdwa v44, v57, v53 dst_sel:DWORD dst_unused:UNUSED_PAD src0_sel:DWORD src1_sel:WORD_1
	v_fma_f16 v44, v8, v53, -v44
	v_mul_f16_sdwa v8, v8, v53 dst_sel:DWORD dst_unused:UNUSED_PAD src0_sel:DWORD src1_sel:WORD_1
	v_fma_f16 v8, v57, v53, v8
	s_waitcnt vmcnt(2)
	;; [unrolled: 5-line block ×4, first 2 shown]
	v_mul_f16_sdwa v61, v63, v56 dst_sel:DWORD dst_unused:UNUSED_PAD src0_sel:DWORD src1_sel:WORD_1
	v_fma_f16 v61, v13, v56, -v61
	v_mul_f16_sdwa v13, v13, v56 dst_sel:DWORD dst_unused:UNUSED_PAD src0_sel:DWORD src1_sel:WORD_1
	v_fma_f16 v13, v63, v56, v13
	v_sub_f16_e32 v63, v0, v64
	v_fma_f16 v0, v0, 2.0, -v63
	v_sub_f16_e32 v40, v1, v40
	v_sub_f16_e32 v4, v41, v4
	v_sub_f16_e32 v64, v10, v57
	v_add_lshl_u32 v57, v15, v24, 2
	v_pack_b32_f16 v0, v0, v39
	v_pack_b32_f16 v3, v63, v3
	v_fma_f16 v1, v1, 2.0, -v40
	v_fma_f16 v41, v41, 2.0, -v4
	v_sub_f16_e32 v9, v58, v9
	ds_write2_b32 v57, v0, v3 offset1:17
	v_mul_u32_u24_e32 v0, 34, v25
	v_sub_f16_e32 v42, v6, v42
	v_sub_f16_e32 v5, v43, v5
	v_fma_f16 v65, v58, 2.0, -v9
	v_add_lshl_u32 v58, v0, v28, 2
	v_pack_b32_f16 v0, v1, v41
	v_pack_b32_f16 v1, v40, v4
	v_fma_f16 v6, v6, 2.0, -v42
	v_fma_f16 v43, v43, 2.0, -v5
	ds_write2_b32 v58, v0, v1 offset1:17
	v_mad_legacy_u16 v0, v29, 34, v30
	v_sub_f16_e32 v44, v7, v44
	v_sub_f16_e32 v8, v45, v8
	;; [unrolled: 1-line block ×3, first 2 shown]
	v_lshlrev_b32_e32 v59, 2, v0
	v_pack_b32_f16 v0, v6, v43
	v_pack_b32_f16 v1, v42, v5
	v_fma_f16 v7, v7, 2.0, -v44
	v_fma_f16 v45, v45, 2.0, -v8
	v_sub_f16_e32 v12, v60, v12
	ds_write2_b32 v59, v0, v1 offset1:17
	v_mad_legacy_u16 v0, v31, 34, v32
	v_fma_f16 v67, v60, 2.0, -v12
	v_lshlrev_b32_e32 v60, 2, v0
	v_pack_b32_f16 v0, v7, v45
	v_pack_b32_f16 v1, v44, v8
	v_fma_f16 v10, v10, 2.0, -v64
	ds_write2_b32 v60, v0, v1 offset1:17
	v_mad_legacy_u16 v0, v33, 34, v34
	v_sub_f16_e32 v68, v2, v61
	v_lshlrev_b32_e32 v61, 2, v0
	v_pack_b32_f16 v0, v10, v65
	v_pack_b32_f16 v1, v64, v9
	v_fma_f16 v11, v11, 2.0, -v66
	v_sub_f16_e32 v13, v62, v13
	ds_write2_b32 v61, v0, v1 offset1:17
	v_mad_legacy_u16 v0, v35, 34, v36
	v_fma_f16 v69, v62, 2.0, -v13
	v_lshlrev_b32_e32 v62, 2, v0
	v_pack_b32_f16 v0, v11, v67
	v_pack_b32_f16 v1, v66, v12
	v_fma_f16 v2, v2, 2.0, -v68
	ds_write2_b32 v62, v0, v1 offset1:17
	v_mad_legacy_u16 v0, v37, 34, v38
	v_lshlrev_b32_e32 v63, 2, v0
	v_pack_b32_f16 v0, v2, v69
	v_pack_b32_f16 v1, v68, v13
	v_lshrrev_b16_e32 v34, 13, v14
	ds_write2_b32 v63, v0, v1 offset1:17
	v_mul_lo_u16_e32 v0, 34, v34
	v_sub_u16_e32 v0, v18, v0
	v_and_b32_e32 v35, 0xff, v0
	v_mad_u64_u32 v[4:5], s[0:1], v35, 24, s[4:5]
	s_waitcnt lgkmcnt(0)
	s_barrier
	global_load_dwordx4 v[0:3], v[4:5], off offset:68
	global_load_dwordx2 v[24:25], v[4:5], off offset:84
	v_lshrrev_b16_e32 v36, 13, v27
	v_mul_lo_u16_e32 v4, 34, v36
	v_sub_u16_e32 v4, v26, v4
	v_and_b32_e32 v37, 0xff, v4
	v_mad_u64_u32 v[8:9], s[0:1], v37, 24, s[4:5]
	global_load_dwordx4 v[4:7], v[8:9], off offset:68
	global_load_dwordx2 v[26:27], v[8:9], off offset:84
	ds_read2_b32 v[8:9], v80 offset0:110 offset1:229
	ds_read2_b32 v[10:11], v21 offset1:119
	ds_read2_b32 v[12:13], v83 offset0:92 offset1:211
	ds_read2_b32 v[14:15], v17 offset0:74 offset1:193
	;; [unrolled: 1-line block ×5, first 2 shown]
	s_waitcnt lgkmcnt(4)
	v_lshrrev_b32_e32 v39, 16, v12
	s_waitcnt lgkmcnt(3)
	v_lshrrev_b32_e32 v40, 16, v14
	v_lshrrev_b32_e32 v38, 16, v8
	s_waitcnt lgkmcnt(2)
	v_lshrrev_b32_e32 v41, 16, v28
	s_waitcnt lgkmcnt(1)
	v_lshrrev_b32_e32 v42, 16, v30
	s_waitcnt lgkmcnt(0)
	v_lshrrev_b32_e32 v43, 16, v32
	v_lshrrev_b32_e32 v44, 16, v9
	;; [unrolled: 1-line block ×7, first 2 shown]
	s_movk_i32 s1, 0x2b26
	s_movk_i32 s0, 0x3b00
	v_mul_u32_u24_e32 v34, 0xee, v34
	s_barrier
	s_waitcnt vmcnt(3)
	v_mul_f16_sdwa v68, v38, v0 dst_sel:DWORD dst_unused:UNUSED_PAD src0_sel:DWORD src1_sel:WORD_1
	v_fma_f16 v68, v8, v0, -v68
	v_mul_f16_sdwa v8, v8, v0 dst_sel:DWORD dst_unused:UNUSED_PAD src0_sel:DWORD src1_sel:WORD_1
	v_fma_f16 v8, v38, v0, v8
	v_mul_f16_sdwa v38, v39, v1 dst_sel:DWORD dst_unused:UNUSED_PAD src0_sel:DWORD src1_sel:WORD_1
	v_fma_f16 v38, v12, v1, -v38
	v_mul_f16_sdwa v12, v12, v1 dst_sel:DWORD dst_unused:UNUSED_PAD src0_sel:DWORD src1_sel:WORD_1
	v_fma_f16 v12, v39, v1, v12
	;; [unrolled: 4-line block ×4, first 2 shown]
	s_waitcnt vmcnt(2)
	v_mul_f16_sdwa v41, v42, v24 dst_sel:DWORD dst_unused:UNUSED_PAD src0_sel:DWORD src1_sel:WORD_1
	v_fma_f16 v41, v30, v24, -v41
	v_mul_f16_sdwa v30, v30, v24 dst_sel:DWORD dst_unused:UNUSED_PAD src0_sel:DWORD src1_sel:WORD_1
	v_fma_f16 v30, v42, v24, v30
	v_mul_f16_sdwa v42, v43, v25 dst_sel:DWORD dst_unused:UNUSED_PAD src0_sel:DWORD src1_sel:WORD_1
	v_fma_f16 v42, v32, v25, -v42
	v_mul_f16_sdwa v32, v32, v25 dst_sel:DWORD dst_unused:UNUSED_PAD src0_sel:DWORD src1_sel:WORD_1
	v_fma_f16 v32, v43, v25, v32
	s_waitcnt vmcnt(1)
	v_mul_f16_sdwa v43, v44, v4 dst_sel:DWORD dst_unused:UNUSED_PAD src0_sel:DWORD src1_sel:WORD_1
	v_fma_f16 v43, v9, v4, -v43
	v_mul_f16_sdwa v9, v9, v4 dst_sel:DWORD dst_unused:UNUSED_PAD src0_sel:DWORD src1_sel:WORD_1
	v_fma_f16 v9, v44, v4, v9
	v_mul_f16_sdwa v44, v45, v5 dst_sel:DWORD dst_unused:UNUSED_PAD src0_sel:DWORD src1_sel:WORD_1
	v_fma_f16 v44, v13, v5, -v44
	v_mul_f16_sdwa v13, v13, v5 dst_sel:DWORD dst_unused:UNUSED_PAD src0_sel:DWORD src1_sel:WORD_1
	v_fma_f16 v13, v45, v5, v13
	;; [unrolled: 4-line block ×4, first 2 shown]
	s_waitcnt vmcnt(0)
	v_mul_f16_sdwa v65, v66, v26 dst_sel:DWORD dst_unused:UNUSED_PAD src0_sel:DWORD src1_sel:WORD_1
	v_fma_f16 v65, v31, v26, -v65
	v_mul_f16_sdwa v31, v31, v26 dst_sel:DWORD dst_unused:UNUSED_PAD src0_sel:DWORD src1_sel:WORD_1
	v_fma_f16 v31, v66, v26, v31
	v_mul_f16_sdwa v66, v67, v27 dst_sel:DWORD dst_unused:UNUSED_PAD src0_sel:DWORD src1_sel:WORD_1
	v_fma_f16 v66, v33, v27, -v66
	v_mul_f16_sdwa v33, v33, v27 dst_sel:DWORD dst_unused:UNUSED_PAD src0_sel:DWORD src1_sel:WORD_1
	v_fma_f16 v33, v67, v27, v33
	v_add_f16_e32 v67, v68, v42
	v_add_f16_e32 v69, v8, v32
	v_sub_f16_e32 v42, v68, v42
	v_sub_f16_e32 v8, v8, v32
	v_add_f16_e32 v32, v38, v41
	v_add_f16_e32 v68, v12, v30
	v_sub_f16_e32 v38, v38, v41
	v_sub_f16_e32 v12, v12, v30
	v_add_f16_e32 v30, v39, v40
	v_add_f16_e32 v41, v14, v28
	v_sub_f16_e32 v39, v40, v39
	v_sub_f16_e32 v14, v28, v14
	v_add_f16_e32 v28, v32, v67
	v_add_f16_e32 v40, v68, v69
	v_sub_f16_e32 v70, v32, v67
	v_sub_f16_e32 v71, v68, v69
	v_sub_f16_e32 v67, v67, v30
	v_sub_f16_e32 v69, v69, v41
	;; [unrolled: 1-line block ×4, first 2 shown]
	v_add_f16_e32 v72, v39, v38
	v_add_f16_e32 v73, v14, v12
	v_sub_f16_e32 v74, v39, v38
	v_sub_f16_e32 v75, v14, v12
	;; [unrolled: 1-line block ×4, first 2 shown]
	v_add_f16_e32 v28, v30, v28
	v_add_f16_e32 v30, v41, v40
	v_sub_f16_e32 v39, v42, v39
	v_sub_f16_e32 v14, v8, v14
	v_add_f16_e32 v40, v72, v42
	v_add_f16_e32 v8, v73, v8
	;; [unrolled: 1-line block ×3, first 2 shown]
	v_add_f16_sdwa v10, v10, v30 dst_sel:DWORD dst_unused:UNUSED_PAD src0_sel:WORD_1 src1_sel:DWORD
	v_mul_f16_e32 v42, 0x3a52, v67
	v_mul_f16_e32 v67, 0x3a52, v69
	;; [unrolled: 1-line block ×8, first 2 shown]
	v_fma_f16 v28, v28, s6, v41
	v_fma_f16 v30, v30, s6, v10
	;; [unrolled: 1-line block ×4, first 2 shown]
	v_fma_f16 v69, v70, s7, -v69
	v_fma_f16 v72, v71, s7, -v72
	;; [unrolled: 1-line block ×4, first 2 shown]
	v_fma_f16 v70, v39, s18, v73
	v_fma_f16 v71, v14, s18, v74
	v_fma_f16 v12, v12, s0, -v74
	v_fma_f16 v39, v39, s19, -v75
	;; [unrolled: 1-line block ×4, first 2 shown]
	v_add_f16_e32 v32, v32, v28
	v_add_f16_e32 v68, v68, v30
	;; [unrolled: 1-line block ×6, first 2 shown]
	v_fma_f16 v42, v40, s16, v70
	v_fma_f16 v67, v8, s16, v71
	;; [unrolled: 1-line block ×6, first 2 shown]
	v_add_f16_e32 v14, v67, v32
	v_sub_f16_e32 v40, v68, v42
	v_add_f16_e32 v70, v8, v28
	v_sub_f16_e32 v71, v30, v39
	v_sub_f16_e32 v8, v28, v8
	v_add_f16_e32 v28, v39, v30
	v_sub_f16_e32 v30, v32, v67
	v_add_f16_e32 v32, v42, v68
	v_add_f16_e32 v39, v43, v66
	;; [unrolled: 1-line block ×3, first 2 shown]
	v_sub_f16_e32 v9, v9, v33
	v_add_f16_e32 v33, v44, v65
	v_sub_f16_e32 v43, v43, v66
	v_add_f16_e32 v66, v13, v31
	v_sub_f16_e32 v44, v44, v65
	v_sub_f16_e32 v13, v13, v31
	v_add_f16_e32 v31, v45, v64
	v_add_f16_e32 v65, v15, v29
	v_sub_f16_e32 v45, v64, v45
	v_sub_f16_e32 v15, v29, v15
	v_add_f16_e32 v29, v33, v39
	v_sub_f16_e32 v73, v69, v12
	v_add_f16_e32 v74, v38, v72
	v_add_f16_e32 v12, v12, v69
	v_sub_f16_e32 v38, v72, v38
	v_add_f16_e32 v64, v66, v42
	v_sub_f16_e32 v67, v33, v39
	v_sub_f16_e32 v33, v31, v33
	v_add_f16_e32 v69, v45, v44
	v_add_f16_e32 v72, v15, v13
	v_sub_f16_e32 v75, v45, v44
	v_sub_f16_e32 v76, v15, v13
	v_add_f16_e32 v29, v31, v29
	v_sub_f16_e32 v39, v39, v31
	v_sub_f16_e32 v45, v43, v45
	;; [unrolled: 1-line block ×5, first 2 shown]
	v_add_f16_e32 v31, v65, v64
	v_add_f16_e32 v43, v69, v43
	;; [unrolled: 1-line block ×4, first 2 shown]
	v_mul_f16_e32 v64, 0x2b26, v33
	v_mul_f16_e32 v72, 0xb846, v75
	v_mul_f16_e32 v75, 0xb846, v76
	v_mul_f16_e32 v77, 0x3b00, v13
	v_fma_f16 v29, v29, s6, v69
	v_fma_f16 v64, v67, s7, -v64
	v_fma_f16 v13, v13, s0, -v75
	v_mul_f16_e32 v39, 0x3a52, v39
	v_add_f16_e32 v64, v64, v29
	v_fma_f16 v13, v9, s16, v13
	v_sub_f16_e32 v68, v66, v42
	v_sub_f16_e32 v42, v42, v65
	;; [unrolled: 1-line block ×3, first 2 shown]
	v_mul_f16_e32 v76, 0x3b00, v44
	v_fma_f16 v33, v33, s1, v39
	v_fma_f16 v39, v67, s17, -v39
	v_fma_f16 v67, v45, s18, v72
	v_fma_f16 v44, v44, s0, -v72
	v_sub_f16_e32 v72, v64, v13
	v_add_f16_e32 v13, v13, v64
	v_add_lshl_u32 v64, v34, v35, 2
	v_pack_b32_f16 v10, v41, v10
	v_pack_b32_f16 v14, v14, v40
	v_add_f16_sdwa v11, v11, v31 dst_sel:DWORD dst_unused:UNUSED_PAD src0_sel:WORD_1 src1_sel:DWORD
	v_mul_f16_e32 v42, 0x3a52, v42
	v_mul_f16_e32 v65, 0x2b26, v66
	ds_write2_b32 v64, v10, v14 offset1:34
	v_pack_b32_f16 v10, v70, v71
	v_pack_b32_f16 v14, v73, v74
	v_fma_f16 v31, v31, s6, v11
	v_fma_f16 v66, v66, s1, v42
	v_fma_f16 v65, v68, s7, -v65
	v_fma_f16 v42, v68, s17, -v42
	v_fma_f16 v68, v15, s18, v75
	ds_write2_b32 v64, v10, v14 offset0:68 offset1:102
	v_pack_b32_f16 v10, v12, v38
	v_pack_b32_f16 v8, v8, v28
	v_fma_f16 v45, v45, s19, -v76
	v_fma_f16 v15, v15, s19, -v77
	v_add_f16_e32 v33, v33, v29
	v_add_f16_e32 v66, v66, v31
	v_add_f16_e32 v65, v65, v31
	v_add_f16_e32 v29, v39, v29
	v_add_f16_e32 v31, v42, v31
	v_fma_f16 v39, v43, s16, v67
	v_fma_f16 v42, v9, s16, v68
	ds_write2_b32 v64, v10, v8 offset0:136 offset1:170
	v_pack_b32_f16 v8, v30, v32
	v_fma_f16 v44, v43, s16, v44
	v_fma_f16 v43, v43, s16, v45
	;; [unrolled: 1-line block ×3, first 2 shown]
	v_add_f16_e32 v15, v42, v33
	v_sub_f16_e32 v45, v66, v39
	ds_write_b32 v64, v8 offset:816
	v_mul_u32_u24_e32 v8, 0xee, v36
	v_add_f16_e32 v67, v9, v29
	v_sub_f16_e32 v68, v31, v43
	v_add_f16_e32 v75, v44, v65
	v_sub_f16_e32 v44, v65, v44
	v_add_lshl_u32 v65, v8, v37, 2
	v_pack_b32_f16 v8, v69, v11
	v_pack_b32_f16 v10, v15, v45
	v_sub_f16_e32 v9, v29, v9
	v_add_f16_e32 v29, v43, v31
	ds_write2_b32 v65, v8, v10 offset1:34
	v_pack_b32_f16 v8, v67, v68
	v_pack_b32_f16 v10, v72, v75
	v_sub_f16_e32 v31, v33, v42
	v_add_f16_e32 v33, v39, v66
	ds_write2_b32 v65, v8, v10 offset0:68 offset1:102
	v_pack_b32_f16 v8, v13, v44
	v_pack_b32_f16 v9, v9, v29
	ds_write2_b32 v65, v8, v9 offset0:136 offset1:170
	v_pack_b32_f16 v8, v31, v33
	v_mad_u64_u32 v[32:33], s[4:5], v18, 24, s[4:5]
	ds_write_b32 v65, v8 offset:816
	s_waitcnt lgkmcnt(0)
	s_barrier
	global_load_dwordx4 v[8:11], v[32:33], off offset:884
	global_load_dwordx2 v[28:29], v[32:33], off offset:900
	global_load_dwordx4 v[12:15], v[32:33], off offset:3740
	global_load_dwordx2 v[30:31], v[32:33], off offset:3756
	ds_read2_b32 v[32:33], v80 offset0:110 offset1:229
	ds_read2_b32 v[40:41], v21 offset1:119
	ds_read2_b32 v[34:35], v83 offset0:92 offset1:211
	ds_read2_b32 v[36:37], v17 offset0:74 offset1:193
	;; [unrolled: 1-line block ×5, first 2 shown]
	s_waitcnt lgkmcnt(4)
	v_lshrrev_b32_e32 v67, 16, v34
	s_waitcnt lgkmcnt(3)
	v_lshrrev_b32_e32 v68, 16, v36
	v_lshrrev_b32_e32 v66, 16, v32
	s_waitcnt lgkmcnt(2)
	v_lshrrev_b32_e32 v69, 16, v38
	s_waitcnt lgkmcnt(1)
	;; [unrolled: 2-line block ×3, first 2 shown]
	v_lshrrev_b32_e32 v71, 16, v44
	v_lshrrev_b32_e32 v72, 16, v33
	;; [unrolled: 1-line block ×7, first 2 shown]
	s_waitcnt vmcnt(3)
	v_mul_f16_sdwa v78, v66, v8 dst_sel:DWORD dst_unused:UNUSED_PAD src0_sel:DWORD src1_sel:WORD_1
	v_fma_f16 v78, v32, v8, -v78
	v_mul_f16_sdwa v32, v32, v8 dst_sel:DWORD dst_unused:UNUSED_PAD src0_sel:DWORD src1_sel:WORD_1
	v_fma_f16 v32, v66, v8, v32
	v_mul_f16_sdwa v66, v67, v9 dst_sel:DWORD dst_unused:UNUSED_PAD src0_sel:DWORD src1_sel:WORD_1
	v_fma_f16 v66, v34, v9, -v66
	v_mul_f16_sdwa v34, v34, v9 dst_sel:DWORD dst_unused:UNUSED_PAD src0_sel:DWORD src1_sel:WORD_1
	v_fma_f16 v34, v67, v9, v34
	;; [unrolled: 4-line block ×4, first 2 shown]
	s_waitcnt vmcnt(2)
	v_mul_f16_sdwa v69, v70, v28 dst_sel:DWORD dst_unused:UNUSED_PAD src0_sel:DWORD src1_sel:WORD_1
	v_fma_f16 v69, v42, v28, -v69
	v_mul_f16_sdwa v42, v42, v28 dst_sel:DWORD dst_unused:UNUSED_PAD src0_sel:DWORD src1_sel:WORD_1
	v_fma_f16 v42, v70, v28, v42
	v_mul_f16_sdwa v70, v71, v29 dst_sel:DWORD dst_unused:UNUSED_PAD src0_sel:DWORD src1_sel:WORD_1
	v_fma_f16 v70, v44, v29, -v70
	v_mul_f16_sdwa v44, v44, v29 dst_sel:DWORD dst_unused:UNUSED_PAD src0_sel:DWORD src1_sel:WORD_1
	v_fma_f16 v44, v71, v29, v44
	s_waitcnt vmcnt(1)
	v_mul_f16_sdwa v71, v72, v12 dst_sel:DWORD dst_unused:UNUSED_PAD src0_sel:DWORD src1_sel:WORD_1
	v_fma_f16 v79, v33, v12, -v71
	v_mul_f16_sdwa v33, v33, v12 dst_sel:DWORD dst_unused:UNUSED_PAD src0_sel:DWORD src1_sel:WORD_1
	v_fma_f16 v84, v72, v12, v33
	v_mul_f16_sdwa v33, v73, v13 dst_sel:DWORD dst_unused:UNUSED_PAD src0_sel:DWORD src1_sel:WORD_1
	v_fma_f16 v85, v35, v13, -v33
	v_mul_f16_sdwa v33, v35, v13 dst_sel:DWORD dst_unused:UNUSED_PAD src0_sel:DWORD src1_sel:WORD_1
	v_fma_f16 v73, v73, v13, v33
	;; [unrolled: 4-line block ×4, first 2 shown]
	s_waitcnt vmcnt(0)
	v_mul_f16_sdwa v33, v76, v30 dst_sel:DWORD dst_unused:UNUSED_PAD src0_sel:DWORD src1_sel:WORD_1
	v_fma_f16 v75, v43, v30, -v33
	v_mul_f16_sdwa v33, v43, v30 dst_sel:DWORD dst_unused:UNUSED_PAD src0_sel:DWORD src1_sel:WORD_1
	v_fma_f16 v43, v76, v30, v33
	v_mul_f16_sdwa v33, v77, v31 dst_sel:DWORD dst_unused:UNUSED_PAD src0_sel:DWORD src1_sel:WORD_1
	v_fma_f16 v76, v45, v31, -v33
	v_mul_f16_sdwa v33, v45, v31 dst_sel:DWORD dst_unused:UNUSED_PAD src0_sel:DWORD src1_sel:WORD_1
	v_fma_f16 v45, v77, v31, v33
	v_add_f16_e32 v33, v78, v70
	v_add_f16_e32 v35, v32, v44
	v_sub_f16_e32 v37, v78, v70
	v_sub_f16_e32 v32, v32, v44
	v_add_f16_e32 v44, v66, v69
	v_add_f16_e32 v70, v34, v42
	v_sub_f16_e32 v66, v66, v69
	v_sub_f16_e32 v34, v34, v42
	;; [unrolled: 4-line block ×4, first 2 shown]
	v_sub_f16_e32 v33, v33, v42
	v_sub_f16_e32 v35, v35, v69
	;; [unrolled: 1-line block ×4, first 2 shown]
	v_add_f16_e32 v77, v67, v66
	v_add_f16_e32 v78, v36, v34
	v_sub_f16_e32 v88, v67, v66
	v_sub_f16_e32 v89, v36, v34
	;; [unrolled: 1-line block ×4, first 2 shown]
	v_add_f16_e32 v38, v42, v38
	v_add_f16_e32 v42, v69, v68
	v_sub_f16_e32 v67, v37, v67
	v_sub_f16_e32 v36, v32, v36
	v_add_f16_e32 v37, v77, v37
	v_add_f16_e32 v68, v78, v32
	;; [unrolled: 1-line block ×3, first 2 shown]
	v_add_f16_sdwa v66, v40, v42 dst_sel:DWORD dst_unused:UNUSED_PAD src0_sel:WORD_1 src1_sel:DWORD
	v_mul_f16_e32 v33, 0x3a52, v33
	v_mul_f16_e32 v35, 0x3a52, v35
	;; [unrolled: 1-line block ×8, first 2 shown]
	v_fma_f16 v38, v38, s6, v32
	v_fma_f16 v42, v42, s6, v66
	;; [unrolled: 1-line block ×4, first 2 shown]
	v_fma_f16 v40, v71, s7, -v40
	v_fma_f16 v69, v72, s7, -v69
	;; [unrolled: 1-line block ×4, first 2 shown]
	v_fma_f16 v71, v67, s18, v77
	v_fma_f16 v72, v36, s18, v78
	v_fma_f16 v77, v90, s0, -v77
	v_fma_f16 v34, v34, s0, -v78
	;; [unrolled: 1-line block ×4, first 2 shown]
	v_add_f16_e32 v44, v44, v38
	v_add_f16_e32 v78, v70, v42
	;; [unrolled: 1-line block ×6, first 2 shown]
	v_fma_f16 v88, v37, s16, v71
	v_fma_f16 v72, v68, s16, v72
	;; [unrolled: 1-line block ×6, first 2 shown]
	v_add_f16_e32 v33, v72, v44
	v_add_f16_e32 v34, v37, v38
	v_sub_f16_e32 v68, v42, v89
	v_sub_f16_e32 v35, v40, v77
	v_add_f16_e32 v69, v71, v70
	v_add_f16_e32 v36, v77, v40
	v_sub_f16_e32 v70, v70, v71
	v_sub_f16_e32 v37, v38, v37
	v_add_f16_e32 v71, v89, v42
	v_sub_f16_e32 v38, v44, v72
	v_add_f16_e32 v40, v79, v76
	v_add_f16_e32 v42, v84, v45
	v_sub_f16_e32 v44, v79, v76
	v_add_f16_e32 v76, v85, v75
	;; [unrolled: 3-line block ×3, first 2 shown]
	v_sub_f16_e32 v45, v84, v45
	v_sub_f16_e32 v75, v85, v75
	;; [unrolled: 1-line block ×3, first 2 shown]
	v_add_f16_e32 v73, v86, v87
	v_add_f16_e32 v78, v74, v39
	v_sub_f16_e32 v79, v87, v86
	v_sub_f16_e32 v39, v39, v74
	v_add_f16_e32 v74, v76, v40
	v_add_f16_e32 v84, v77, v42
	v_sub_f16_e32 v85, v76, v40
	v_sub_f16_e32 v86, v77, v42
	;; [unrolled: 1-line block ×6, first 2 shown]
	v_add_f16_e32 v87, v79, v75
	v_add_f16_e32 v88, v39, v43
	v_sub_f16_e32 v89, v79, v75
	v_sub_f16_e32 v90, v39, v43
	v_add_f16_e32 v74, v73, v74
	v_add_f16_e32 v78, v78, v84
	v_sub_f16_e32 v79, v44, v79
	v_sub_f16_e32 v91, v45, v39
	;; [unrolled: 1-line block ×4, first 2 shown]
	v_add_f16_e32 v44, v87, v44
	v_add_f16_e32 v45, v88, v45
	;; [unrolled: 1-line block ×3, first 2 shown]
	v_add_f16_sdwa v73, v41, v78 dst_sel:DWORD dst_unused:UNUSED_PAD src0_sel:WORD_1 src1_sel:DWORD
	v_mul_f16_e32 v40, 0x3a52, v40
	v_mul_f16_e32 v41, 0x3a52, v42
	;; [unrolled: 1-line block ×8, first 2 shown]
	v_fma_f16 v74, v74, s6, v39
	v_fma_f16 v78, v78, s6, v73
	;; [unrolled: 1-line block ×4, first 2 shown]
	v_fma_f16 v42, v85, s7, -v42
	v_fma_f16 v84, v86, s7, -v84
	;; [unrolled: 1-line block ×4, first 2 shown]
	v_fma_f16 v85, v79, s18, v87
	v_fma_f16 v86, v91, s18, v88
	v_fma_f16 v75, v75, s0, -v87
	v_fma_f16 v43, v43, s0, -v88
	;; [unrolled: 1-line block ×4, first 2 shown]
	v_add_f16_e32 v88, v76, v74
	v_add_f16_e32 v89, v77, v78
	;; [unrolled: 1-line block ×4, first 2 shown]
	v_fma_f16 v85, v44, s16, v85
	v_fma_f16 v86, v45, s16, v86
	;; [unrolled: 1-line block ×4, first 2 shown]
	v_add_f16_e32 v90, v40, v74
	v_add_f16_e32 v78, v41, v78
	v_fma_f16 v79, v44, s16, v79
	v_fma_f16 v44, v45, s16, v87
	v_add_f16_e32 v40, v86, v88
	v_sub_f16_e32 v74, v89, v85
	v_sub_f16_e32 v42, v77, v43
	v_add_f16_e32 v76, v91, v84
	v_add_f16_e32 v43, v43, v77
	v_sub_f16_e32 v77, v84, v91
	v_pack_b32_f16 v84, v32, v66
	v_pack_b32_f16 v91, v39, v73
	v_add_f16_e32 v41, v44, v90
	v_sub_f16_e32 v75, v78, v79
	v_add_f16_e32 v78, v79, v78
	v_add_f16_e32 v79, v85, v89
	v_pack_b32_f16 v85, v33, v67
	ds_write2_b32 v21, v84, v91 offset1:119
	v_pack_b32_f16 v84, v40, v74
	v_sub_f16_e32 v45, v88, v86
	v_pack_b32_f16 v86, v34, v68
	ds_write2_b32 v80, v85, v84 offset0:110 offset1:229
	v_pack_b32_f16 v80, v41, v75
	v_pack_b32_f16 v87, v35, v69
	ds_write2_b32 v83, v86, v80 offset0:92 offset1:211
	v_pack_b32_f16 v80, v42, v76
	v_sub_f16_e32 v44, v90, v44
	v_pack_b32_f16 v88, v36, v70
	ds_write2_b32 v17, v87, v80 offset0:74 offset1:193
	v_pack_b32_f16 v17, v43, v77
	v_pack_b32_f16 v89, v37, v71
	ds_write2_b32 v19, v88, v17 offset0:56 offset1:175
	v_pack_b32_f16 v17, v44, v78
	;; [unrolled: 3-line block ×3, first 2 shown]
	v_lshlrev_b32_e32 v19, 2, v18
	ds_write2_b32 v82, v90, v17 offset0:20 offset1:139
	s_waitcnt lgkmcnt(0)
	s_barrier
	s_and_saveexec_b64 s[0:1], s[2:3]
	s_cbranch_execz .LBB0_9
; %bb.8:
	v_mov_b32_e32 v17, 0
	v_lshl_add_u64 v[80:81], s[12:13], 0, v[16:17]
	v_add_co_u32_e32 v82, vcc, 0x1000, v80
	s_mov_b64 s[4:5], 0x1a08
	s_nop 0
	v_addc_co_u32_e32 v83, vcc, 0, v81, vcc
	global_load_dword v17, v[82:83], off offset:2568
	v_lshl_add_u64 v[82:83], v[80:81], 0, s[4:5]
	global_load_dword v88, v[82:83], off offset:392
	global_load_dword v89, v[82:83], off offset:784
	;; [unrolled: 1-line block ×8, first 2 shown]
	s_movk_i32 s4, 0x2000
	v_add_co_u32_e32 v84, vcc, s4, v80
	s_movk_i32 s5, 0x3000
	s_nop 0
	v_addc_co_u32_e32 v85, vcc, 0, v81, vcc
	v_add_co_u32_e32 v80, vcc, s5, v80
	v_add_u32_e32 v103, 0x400, v19
	s_nop 0
	v_addc_co_u32_e32 v81, vcc, 0, v81, vcc
	global_load_dword v96, v[82:83], off offset:3528
	global_load_dword v97, v[84:85], off offset:2784
	;; [unrolled: 1-line block ×7, first 2 shown]
	ds_read_b32 v82, v21
	v_add_u32_e32 v104, 0x600, v19
	v_add_u32_e32 v105, 0xa00, v19
	s_waitcnt lgkmcnt(0)
	v_lshrrev_b32_e32 v83, 16, v82
	s_waitcnt vmcnt(15)
	v_mul_f16_sdwa v84, v83, v17 dst_sel:DWORD dst_unused:UNUSED_PAD src0_sel:DWORD src1_sel:WORD_1
	v_mul_f16_sdwa v85, v82, v17 dst_sel:DWORD dst_unused:UNUSED_PAD src0_sel:DWORD src1_sel:WORD_1
	v_fma_f16 v82, v82, v17, -v84
	v_fma_f16 v17, v83, v17, v85
	v_pack_b32_f16 v17, v82, v17
	ds_write_b32 v21, v17
	global_load_dword v17, v[80:81], off offset:648
	ds_read2_b32 v[82:83], v19 offset0:98 offset1:196
	ds_read2_b32 v[80:81], v103 offset0:38 offset1:136
	ds_read2_b32 v[84:85], v104 offset0:106 offset1:204
	ds_read2_b32 v[86:87], v105 offset0:46 offset1:144
	s_waitcnt lgkmcnt(2)
	v_lshrrev_b32_e32 v110, 16, v80
	v_lshrrev_b32_e32 v106, 16, v82
	s_waitcnt vmcnt(15)
	v_mul_f16_sdwa v107, v82, v88 dst_sel:DWORD dst_unused:UNUSED_PAD src0_sel:DWORD src1_sel:WORD_1
	v_lshrrev_b32_e32 v108, 16, v83
	s_waitcnt vmcnt(14)
	v_mul_f16_sdwa v109, v83, v89 dst_sel:DWORD dst_unused:UNUSED_PAD src0_sel:DWORD src1_sel:WORD_1
	s_waitcnt vmcnt(13)
	v_mul_f16_sdwa v111, v80, v90 dst_sel:DWORD dst_unused:UNUSED_PAD src0_sel:DWORD src1_sel:WORD_1
	v_lshrrev_b32_e32 v112, 16, v81
	s_waitcnt vmcnt(12)
	v_mul_f16_sdwa v113, v81, v91 dst_sel:DWORD dst_unused:UNUSED_PAD src0_sel:DWORD src1_sel:WORD_1
	s_waitcnt lgkmcnt(1)
	v_lshrrev_b32_e32 v114, 16, v84
	s_waitcnt vmcnt(11)
	v_mul_f16_sdwa v115, v84, v92 dst_sel:DWORD dst_unused:UNUSED_PAD src0_sel:DWORD src1_sel:WORD_1
	v_lshrrev_b32_e32 v116, 16, v85
	v_mul_f16_sdwa v121, v106, v88 dst_sel:DWORD dst_unused:UNUSED_PAD src0_sel:DWORD src1_sel:WORD_1
	v_fma_f16 v106, v106, v88, v107
	v_mul_f16_sdwa v107, v108, v89 dst_sel:DWORD dst_unused:UNUSED_PAD src0_sel:DWORD src1_sel:WORD_1
	v_fma_f16 v108, v108, v89, v109
	;; [unrolled: 2-line block ×4, first 2 shown]
	v_mul_f16_sdwa v113, v114, v92 dst_sel:DWORD dst_unused:UNUSED_PAD src0_sel:DWORD src1_sel:WORD_1
	s_waitcnt vmcnt(10)
	v_mul_f16_sdwa v117, v85, v93 dst_sel:DWORD dst_unused:UNUSED_PAD src0_sel:DWORD src1_sel:WORD_1
	v_fma_f16 v114, v114, v92, v115
	v_mul_f16_sdwa v115, v116, v93 dst_sel:DWORD dst_unused:UNUSED_PAD src0_sel:DWORD src1_sel:WORD_1
	v_fma_f16 v82, v82, v88, -v121
	v_fma_f16 v83, v83, v89, -v107
	;; [unrolled: 1-line block ×4, first 2 shown]
	s_waitcnt lgkmcnt(0)
	v_lshrrev_b32_e32 v120, 16, v87
	v_fma_f16 v116, v116, v93, v117
	v_fma_f16 v81, v81, v91, -v111
	v_fma_f16 v85, v85, v93, -v115
	v_pack_b32_f16 v82, v82, v106
	v_pack_b32_f16 v83, v83, v108
	v_pack_b32_f16 v80, v80, v110
	v_pack_b32_f16 v84, v84, v114
	v_pack_b32_f16 v81, v81, v112
	v_pack_b32_f16 v85, v85, v116
	ds_write2_b32 v19, v82, v83 offset0:98 offset1:196
	ds_write2_b32 v103, v80, v81 offset0:38 offset1:136
	;; [unrolled: 1-line block ×3, first 2 shown]
	s_waitcnt vmcnt(8)
	v_mul_f16_sdwa v80, v120, v95 dst_sel:DWORD dst_unused:UNUSED_PAD src0_sel:DWORD src1_sel:WORD_1
	v_add_u32_e32 v84, 0xc00, v19
	v_fma_f16 v82, v87, v95, -v80
	ds_read2_b32 v[80:81], v84 offset0:114 offset1:212
	v_lshrrev_b32_e32 v118, 16, v86
	v_mul_f16_sdwa v119, v86, v94 dst_sel:DWORD dst_unused:UNUSED_PAD src0_sel:DWORD src1_sel:WORD_1
	v_mul_f16_sdwa v117, v118, v94 dst_sel:DWORD dst_unused:UNUSED_PAD src0_sel:DWORD src1_sel:WORD_1
	;; [unrolled: 1-line block ×3, first 2 shown]
	v_fma_f16 v118, v118, v94, v119
	v_fma_f16 v86, v86, v94, -v117
	v_fma_f16 v83, v120, v95, v83
	v_pack_b32_f16 v86, v86, v118
	v_pack_b32_f16 v82, v82, v83
	ds_write2_b32 v105, v86, v82 offset0:46 offset1:144
	s_waitcnt lgkmcnt(1)
	v_lshrrev_b32_e32 v82, 16, v80
	s_waitcnt vmcnt(7)
	v_mul_f16_sdwa v83, v82, v96 dst_sel:DWORD dst_unused:UNUSED_PAD src0_sel:DWORD src1_sel:WORD_1
	v_fma_f16 v83, v80, v96, -v83
	v_mul_f16_sdwa v80, v80, v96 dst_sel:DWORD dst_unused:UNUSED_PAD src0_sel:DWORD src1_sel:WORD_1
	v_lshrrev_b32_e32 v85, 16, v81
	v_fma_f16 v80, v82, v96, v80
	s_waitcnt vmcnt(1)
	v_mul_f16_sdwa v82, v85, v102 dst_sel:DWORD dst_unused:UNUSED_PAD src0_sel:DWORD src1_sel:WORD_1
	v_add_u32_e32 v87, 0x1000, v19
	v_pack_b32_f16 v80, v83, v80
	v_fma_f16 v86, v81, v102, -v82
	ds_read2_b32 v[82:83], v87 offset0:54 offset1:152
	v_mul_f16_sdwa v81, v81, v102 dst_sel:DWORD dst_unused:UNUSED_PAD src0_sel:DWORD src1_sel:WORD_1
	v_fma_f16 v81, v85, v102, v81
	v_pack_b32_f16 v81, v86, v81
	ds_write2_b32 v84, v80, v81 offset0:114 offset1:212
	s_waitcnt lgkmcnt(1)
	v_lshrrev_b32_e32 v80, 16, v82
	v_mul_f16_sdwa v81, v80, v97 dst_sel:DWORD dst_unused:UNUSED_PAD src0_sel:DWORD src1_sel:WORD_1
	v_fma_f16 v81, v82, v97, -v81
	v_mul_f16_sdwa v82, v82, v97 dst_sel:DWORD dst_unused:UNUSED_PAD src0_sel:DWORD src1_sel:WORD_1
	v_fma_f16 v80, v80, v97, v82
	v_lshrrev_b32_e32 v84, 16, v83
	v_pack_b32_f16 v82, v81, v80
	v_mul_f16_sdwa v80, v84, v98 dst_sel:DWORD dst_unused:UNUSED_PAD src0_sel:DWORD src1_sel:WORD_1
	v_add_u32_e32 v86, 0x1200, v19
	v_fma_f16 v85, v83, v98, -v80
	ds_read2_b32 v[80:81], v86 offset0:122 offset1:220
	v_mul_f16_sdwa v83, v83, v98 dst_sel:DWORD dst_unused:UNUSED_PAD src0_sel:DWORD src1_sel:WORD_1
	v_fma_f16 v83, v84, v98, v83
	v_pack_b32_f16 v83, v85, v83
	ds_write2_b32 v87, v82, v83 offset0:54 offset1:152
	s_waitcnt lgkmcnt(1)
	v_lshrrev_b32_e32 v82, 16, v80
	v_mul_f16_sdwa v83, v82, v99 dst_sel:DWORD dst_unused:UNUSED_PAD src0_sel:DWORD src1_sel:WORD_1
	v_fma_f16 v83, v80, v99, -v83
	v_mul_f16_sdwa v80, v80, v99 dst_sel:DWORD dst_unused:UNUSED_PAD src0_sel:DWORD src1_sel:WORD_1
	v_lshrrev_b32_e32 v84, 16, v81
	v_fma_f16 v80, v82, v99, v80
	v_mul_f16_sdwa v82, v84, v100 dst_sel:DWORD dst_unused:UNUSED_PAD src0_sel:DWORD src1_sel:WORD_1
	v_add_u32_e32 v87, 0x1600, v19
	v_pack_b32_f16 v80, v83, v80
	v_fma_f16 v85, v81, v100, -v82
	ds_read2_b32 v[82:83], v87 offset0:62 offset1:160
	v_mul_f16_sdwa v81, v81, v100 dst_sel:DWORD dst_unused:UNUSED_PAD src0_sel:DWORD src1_sel:WORD_1
	v_fma_f16 v81, v84, v100, v81
	v_pack_b32_f16 v81, v85, v81
	ds_write2_b32 v86, v80, v81 offset0:122 offset1:220
	s_waitcnt lgkmcnt(1)
	v_lshrrev_b32_e32 v80, 16, v82
	v_mul_f16_sdwa v81, v80, v101 dst_sel:DWORD dst_unused:UNUSED_PAD src0_sel:DWORD src1_sel:WORD_1
	v_fma_f16 v81, v82, v101, -v81
	v_mul_f16_sdwa v82, v82, v101 dst_sel:DWORD dst_unused:UNUSED_PAD src0_sel:DWORD src1_sel:WORD_1
	v_fma_f16 v80, v80, v101, v82
	v_pack_b32_f16 v80, v81, v80
	v_lshrrev_b32_e32 v81, 16, v83
	s_waitcnt vmcnt(0)
	v_mul_f16_sdwa v82, v81, v17 dst_sel:DWORD dst_unused:UNUSED_PAD src0_sel:DWORD src1_sel:WORD_1
	v_fma_f16 v82, v83, v17, -v82
	v_mul_f16_sdwa v83, v83, v17 dst_sel:DWORD dst_unused:UNUSED_PAD src0_sel:DWORD src1_sel:WORD_1
	v_fma_f16 v17, v81, v17, v83
	v_pack_b32_f16 v17, v82, v17
	ds_write2_b32 v87, v80, v17 offset0:62 offset1:160
.LBB0_9:
	s_or_b64 exec, exec, s[0:1]
	s_waitcnt lgkmcnt(0)
	s_barrier
	s_and_saveexec_b64 s[0:1], s[2:3]
	s_cbranch_execz .LBB0_11
; %bb.10:
	v_add_u32_e32 v17, 0x200, v21
	ds_read2_b32 v[34:35], v17 offset0:68 offset1:166
	v_add_u32_e32 v17, 0x400, v21
	ds_read2_b32 v[36:37], v17 offset0:136 offset1:234
	v_add_u32_e32 v17, 0x800, v21
	ds_read2_b32 v[38:39], v17 offset0:76 offset1:174
	v_add_u32_e32 v17, 0xc00, v21
	ds_read2_b32 v[40:41], v17 offset0:16 offset1:114
	v_add_u32_e32 v17, 0xe00, v21
	ds_read2_b32 v[42:43], v17 offset0:84 offset1:182
	v_add_u32_e32 v17, 0x1000, v21
	ds_read2_b32 v[44:45], v17 offset0:152 offset1:250
	v_add_u32_e32 v17, 0x1400, v21
	ds_read2_b32 v[32:33], v21 offset1:98
	ds_read2_b32 v[22:23], v17 offset0:92 offset1:190
	ds_read_b32 v49, v21 offset:6272
	s_waitcnt lgkmcnt(8)
	v_lshrrev_b32_e32 v68, 16, v34
	v_lshrrev_b32_e32 v69, 16, v35
	s_waitcnt lgkmcnt(2)
	v_lshrrev_b32_e32 v66, 16, v32
	v_lshrrev_b32_e32 v67, 16, v33
	;; [unrolled: 1-line block ×12, first 2 shown]
	s_waitcnt lgkmcnt(1)
	v_lshrrev_b32_e32 v48, 16, v22
	v_lshrrev_b32_e32 v47, 16, v23
	s_waitcnt lgkmcnt(0)
	v_lshrrev_b32_e32 v46, 16, v49
.LBB0_11:
	s_or_b64 exec, exec, s[0:1]
	s_barrier
	s_and_saveexec_b64 s[0:1], s[2:3]
	s_cbranch_execz .LBB0_13
; %bb.12:
	v_sub_f16_e32 v17, v33, v49
	v_mul_f16_e32 v114, 0xbbf7, v17
	v_add_f16_e32 v100, v46, v67
	s_movk_i32 s5, 0x2de8
	v_sub_f16_e32 v81, v34, v23
	v_fma_f16 v80, v100, s5, v114
	v_mul_f16_e32 v115, 0xb1e1, v81
	v_add_f16_e32 v102, v47, v68
	s_mov_b32 s4, 0xbbdd
	v_add_f16_e32 v80, v66, v80
	v_fma_f16 v82, v102, s4, v115
	v_add_f16_e32 v80, v82, v80
	v_sub_f16_e32 v82, v35, v22
	v_mul_f16_e32 v116, 0x3bb2, v82
	v_add_f16_e32 v103, v48, v69
	s_mov_b32 s7, 0xb461
	v_fma_f16 v83, v103, s7, v116
	v_add_f16_e32 v80, v83, v80
	v_sub_f16_e32 v83, v36, v45
	v_mul_f16_e32 v117, 0x35c8, v83
	v_add_f16_e32 v104, v79, v70
	s_movk_i32 s17, 0x3b76
	v_fma_f16 v84, v104, s17, v117
	v_add_f16_e32 v80, v84, v80
	v_sub_f16_e32 v84, v37, v44
	v_mul_f16_e32 v118, 0xbb29, v84
	v_add_f16_e32 v105, v78, v71
	s_movk_i32 s19, 0x3722
	v_fma_f16 v85, v105, s19, v118
	v_add_f16_e32 v80, v85, v80
	v_sub_f16_e32 v85, v38, v43
	v_mul_f16_e32 v119, 0xb836, v85
	v_add_f16_e32 v106, v77, v72
	s_mov_b32 s18, 0xbacd
	v_fma_f16 v86, v106, s18, v119
	v_add_f16_e32 v80, v86, v80
	v_sub_f16_e32 v86, v39, v42
	v_mul_f16_e32 v120, 0x3a62, v86
	v_add_f16_e32 v107, v76, v73
	s_mov_b32 s20, 0xb8d2
	v_fma_f16 v87, v107, s20, v120
	v_add_f16_e32 v80, v87, v80
	v_sub_f16_e32 v87, v40, v41
	v_mul_f16_e32 v121, 0x3964, v87
	v_add_f16_e32 v109, v75, v74
	s_movk_i32 s23, 0x39e9
	v_fma_f16 v88, v109, s23, v121
	v_sub_f16_e32 v110, v67, v46
	v_add_f16_e32 v80, v88, v80
	v_add_f16_e32 v88, v49, v33
	v_mul_f16_e32 v122, 0xbbf7, v110
	v_fma_f16 v89, v88, s5, -v122
	v_sub_f16_e32 v111, v68, v47
	v_add_f16_e32 v90, v32, v89
	v_add_f16_e32 v89, v23, v34
	v_mul_f16_e32 v123, 0xb1e1, v111
	v_fma_f16 v91, v89, s4, -v123
	;; [unrolled: 5-line block ×8, first 2 shown]
	v_mul_f16_e32 v134, 0xbbb2, v17
	v_fma_f16 v114, v100, s5, -v114
	v_add_f16_e32 v90, v97, v90
	v_fma_f16 v97, v100, s7, v134
	v_mul_f16_e32 v135, 0x3836, v81
	v_add_f16_e32 v114, v66, v114
	v_fma_f16 v115, v102, s4, -v115
	v_add_f16_e32 v97, v66, v97
	v_fma_f16 v98, v102, s18, v135
	v_mul_f16_e32 v136, 0x3964, v82
	v_add_f16_e32 v114, v115, v114
	;; [unrolled: 5-line block ×8, first 2 shown]
	v_fma_f16 v115, v88, s5, v122
	v_add_f16_e32 v97, v98, v97
	v_fma_f16 v98, v88, s7, -v142
	v_mul_f16_e32 v143, 0x3836, v111
	v_add_f16_e32 v115, v32, v115
	v_fma_f16 v116, v89, s4, v123
	v_add_f16_e32 v98, v32, v98
	v_fma_f16 v99, v89, s18, -v143
	v_mul_f16_e32 v144, 0x3964, v112
	v_add_f16_e32 v115, v116, v115
	;; [unrolled: 5-line block ×7, first 2 shown]
	v_fma_f16 v116, v96, s23, v133
	v_add_f16_e32 v98, v99, v98
	v_fma_f16 v99, v96, s20, -v149
	v_mul_f16_e32 v150, 0xba62, v17
	s_movk_i32 s34, 0x3b29
	v_add_f16_e32 v115, v116, v115
	v_mul_f16_e32 v116, 0x3722, v100
	s_movk_i32 s33, 0x3a62
	v_add_f16_e32 v98, v99, v98
	v_fma_f16 v99, v100, s20, v150
	v_mul_f16_e32 v151, 0x3bb2, v81
	v_fma_f16 v117, v17, s34, v116
	v_mul_f16_e32 v118, 0xb8d2, v102
	v_add_f16_e32 v99, v66, v99
	v_fma_f16 v101, v102, s7, v151
	v_mul_f16_e32 v152, 0xb5c8, v82
	v_add_f16_e32 v117, v66, v117
	v_fma_f16 v119, v81, s33, v118
	s_mov_b32 s6, 0xb1e1
	v_add_f16_e32 v99, v101, v99
	v_fma_f16 v101, v103, s17, v152
	v_mul_f16_e32 v153, 0xb836, v83
	v_add_f16_e32 v117, v119, v117
	v_mul_f16_e32 v119, 0xbbdd, v103
	v_add_f16_e32 v99, v101, v99
	v_fma_f16 v101, v104, s18, v153
	v_mul_f16_e32 v154, 0x3bf7, v84
	v_fma_f16 v120, v82, s6, v119
	s_mov_b32 s26, 0xbbb2
	v_add_f16_e32 v99, v101, v99
	v_fma_f16 v101, v105, s5, v154
	v_mul_f16_e32 v155, 0xb964, v85
	v_fma_f16 v134, v100, s7, -v134
	v_add_f16_e32 v117, v120, v117
	v_mul_f16_e32 v120, 0xb461, v104
	v_add_f16_e32 v99, v101, v99
	v_fma_f16 v101, v106, s23, v155
	v_mul_f16_e32 v156, 0xb1e1, v86
	v_add_f16_e32 v134, v66, v134
	v_fma_f16 v135, v102, s18, -v135
	v_fma_f16 v121, v83, s26, v120
	v_add_f16_e32 v99, v101, v99
	v_fma_f16 v101, v107, s4, v156
	v_mul_f16_e32 v157, 0x3b29, v87
	v_add_f16_e32 v134, v135, v134
	v_fma_f16 v135, v103, s23, -v136
	v_add_f16_e32 v117, v121, v117
	v_mul_f16_e32 v121, 0x39e9, v105
	v_add_f16_e32 v99, v101, v99
	v_fma_f16 v101, v109, s19, v157
	v_mul_f16_e32 v158, 0xba62, v110
	v_add_f16_e32 v134, v135, v134
	v_fma_f16 v135, v104, s19, -v137
	v_fma_f16 v122, v84, s31, v121
	s_movk_i32 s25, 0x35c8
	v_add_f16_e32 v99, v101, v99
	v_fma_f16 v101, v88, s20, -v158
	v_mul_f16_e32 v159, 0x3bb2, v111
	v_add_f16_e32 v134, v135, v134
	v_fma_f16 v135, v105, s4, -v138
	v_add_f16_e32 v117, v122, v117
	v_mul_f16_e32 v122, 0x3b76, v106
	v_add_f16_e32 v101, v32, v101
	v_fma_f16 v108, v89, s7, -v159
	v_mul_f16_e32 v160, 0xb5c8, v112
	v_add_f16_e32 v134, v135, v134
	v_fma_f16 v135, v106, s5, -v139
	v_fma_f16 v123, v85, s25, v122
	s_movk_i32 s35, 0x3bf7
	v_add_f16_e32 v101, v108, v101
	v_fma_f16 v108, v91, s17, -v160
	v_mul_f16_e32 v161, 0xb836, v113
	v_add_f16_e32 v134, v135, v134
	v_fma_f16 v135, v107, s17, -v140
	v_add_f16_e32 v117, v123, v117
	v_mul_f16_e32 v123, 0x2de8, v107
	v_add_f16_e32 v101, v108, v101
	v_fma_f16 v108, v92, s18, -v161
	v_mul_f16_e32 v162, 0x3bf7, v126
	v_add_f16_e32 v134, v135, v134
	v_fma_f16 v135, v109, s20, -v141
	v_fma_f16 v124, v86, s35, v123
	s_movk_i32 s30, 0x3836
	v_add_f16_e32 v101, v108, v101
	v_fma_f16 v108, v93, s5, -v162
	v_mul_f16_e32 v163, 0xb964, v128
	v_add_f16_e32 v134, v135, v134
	v_fma_f16 v135, v88, s7, v142
	v_add_f16_e32 v117, v124, v117
	v_mul_f16_e32 v124, 0xbacd, v109
	v_add_f16_e32 v101, v108, v101
	v_fma_f16 v108, v94, s23, -v163
	v_mul_f16_e32 v164, 0xb1e1, v130
	v_add_f16_e32 v135, v32, v135
	v_fma_f16 v136, v89, s18, v143
	v_fma_f16 v125, v87, s30, v124
	v_add_f16_e32 v101, v108, v101
	v_fma_f16 v108, v95, s4, -v164
	v_mul_f16_e32 v165, 0x3b29, v132
	v_add_f16_e32 v135, v136, v135
	v_fma_f16 v136, v91, s23, v144
	v_add_f16_e32 v117, v125, v117
	v_mul_f16_e32 v125, 0xbb29, v110
	v_add_f16_e32 v101, v108, v101
	v_fma_f16 v108, v96, s19, -v165
	v_mul_f16_e32 v166, 0xb836, v17
	v_add_f16_e32 v135, v136, v135
	v_fma_f16 v136, v92, s19, v145
	v_fma_f16 v127, v88, s19, v125
	v_mul_f16_e32 v129, 0xba62, v111
	v_add_f16_e32 v33, v33, v32
	v_add_f16_e32 v101, v108, v101
	v_fma_f16 v108, v100, s18, v166
	v_mul_f16_e32 v167, 0x3b29, v81
	v_add_f16_e32 v135, v136, v135
	v_fma_f16 v136, v93, s4, v146
	v_add_f16_e32 v127, v32, v127
	v_fma_f16 v131, v89, s20, v129
	v_add_f16_e32 v33, v34, v33
	v_add_f16_e32 v108, v66, v108
	v_fma_f16 v168, v102, s19, v167
	v_add_f16_e32 v135, v136, v135
	v_fma_f16 v136, v94, s5, v147
	v_add_f16_e32 v127, v131, v127
	v_mul_f16_e32 v131, 0x31e1, v112
	v_add_f16_e32 v33, v35, v33
	v_add_f16_e32 v108, v168, v108
	v_mul_f16_e32 v168, 0xbbf7, v82
	v_add_f16_e32 v135, v136, v135
	v_fma_f16 v136, v95, s17, v148
	v_fma_f16 v133, v91, s4, v131
	v_add_f16_e32 v33, v36, v33
	v_fma_f16 v169, v103, s5, v168
	v_add_f16_e32 v135, v136, v135
	;; [unrolled: 2-line block ×3, first 2 shown]
	v_mul_f16_e32 v133, 0x3bb2, v113
	v_add_f16_e32 v33, v37, v33
	v_add_f16_e32 v108, v169, v108
	v_mul_f16_e32 v169, 0x3a62, v83
	v_add_f16_e32 v135, v136, v135
	v_fma_f16 v136, v92, s7, v133
	v_add_f16_e32 v33, v38, v33
	v_fma_f16 v170, v104, s20, v169
	v_add_f16_e32 v127, v136, v127
	v_mul_f16_e32 v136, 0x3964, v126
	v_add_f16_e32 v33, v39, v33
	v_add_f16_e32 v108, v170, v108
	v_mul_f16_e32 v170, 0xb5c8, v84
	v_fma_f16 v137, v93, s23, v136
	v_add_f16_e32 v33, v40, v33
	v_fma_f16 v171, v105, s17, v170
	v_add_f16_e32 v127, v137, v127
	v_mul_f16_e32 v137, 0xb5c8, v128
	v_add_f16_e32 v33, v41, v33
	v_add_f16_e32 v108, v171, v108
	v_mul_f16_e32 v171, 0xb1e1, v85
	;; [unrolled: 8-line block ×3, first 2 shown]
	v_fma_f16 v139, v95, s5, v138
	v_add_f16_e32 v33, v44, v33
	s_mov_b32 s22, 0xbb29
	v_fma_f16 v173, v107, s23, v172
	v_add_f16_e32 v127, v139, v127
	v_mul_f16_e32 v139, 0xb836, v132
	v_add_f16_e32 v33, v45, v33
	v_add_f16_e32 v108, v173, v108
	v_mul_f16_e32 v173, 0xbbb2, v87
	v_fma_f16 v140, v96, s18, v139
	v_add_f16_e32 v22, v22, v33
	v_fma_f16 v33, v17, s22, v116
	s_movk_i32 s27, 0x3964
	v_fma_f16 v174, v109, s7, v173
	v_fma_f16 v150, v100, s20, -v150
	v_add_f16_e32 v127, v140, v127
	v_mul_f16_e32 v140, 0x39e9, v100
	v_add_f16_e32 v33, v66, v33
	v_fma_f16 v34, v81, s28, v118
	s_movk_i32 s24, 0x3bb2
	v_add_f16_e32 v108, v174, v108
	v_mul_f16_e32 v174, 0xb836, v110
	v_add_f16_e32 v150, v66, v150
	v_fma_f16 v151, v102, s7, -v151
	v_fma_f16 v141, v17, s27, v140
	v_mul_f16_e32 v142, 0x2de8, v102
	v_add_f16_e32 v33, v34, v33
	v_fma_f16 v34, v82, s36, v119
	v_fma_f16 v175, v88, s18, -v174
	v_mul_f16_e32 v176, 0x3b29, v111
	v_add_f16_e32 v150, v151, v150
	v_fma_f16 v151, v103, s17, -v152
	v_add_f16_e32 v141, v66, v141
	v_fma_f16 v143, v81, s35, v142
	v_add_f16_e32 v33, v34, v33
	v_fma_f16 v34, v83, s24, v120
	s_mov_b32 s29, 0xb5c8
	v_add_f16_e32 v175, v32, v175
	v_fma_f16 v177, v89, s19, -v176
	v_add_f16_e32 v150, v151, v150
	v_fma_f16 v151, v104, s18, -v153
	v_add_f16_e32 v141, v143, v141
	v_mul_f16_e32 v143, 0xb8d2, v103
	v_add_f16_e32 v33, v34, v33
	v_fma_f16 v34, v84, s27, v121
	s_mov_b32 s16, 0xbbf7
	v_add_f16_e32 v175, v177, v175
	v_mul_f16_e32 v177, 0xbbf7, v112
	v_add_f16_e32 v150, v151, v150
	v_fma_f16 v151, v105, s5, -v154
	v_fma_f16 v144, v82, s33, v143
	v_add_f16_e32 v33, v34, v33
	v_fma_f16 v34, v85, s29, v122
	s_mov_b32 s21, 0xb836
	v_fma_f16 v178, v91, s5, -v177
	v_add_f16_e32 v150, v151, v150
	v_fma_f16 v151, v106, s23, -v155
	v_add_f16_e32 v141, v144, v141
	v_mul_f16_e32 v144, 0xbbdd, v104
	v_add_f16_e32 v33, v34, v33
	v_fma_f16 v34, v86, s16, v123
	v_add_f16_e32 v175, v178, v175
	v_mul_f16_e32 v178, 0x3a62, v113
	v_add_f16_e32 v150, v151, v150
	v_fma_f16 v151, v107, s4, -v156
	v_fma_f16 v145, v83, s36, v144
	v_add_f16_e32 v33, v34, v33
	v_fma_f16 v34, v87, s21, v124
	v_fma_f16 v179, v92, s20, -v178
	v_add_f16_e32 v150, v151, v150
	v_fma_f16 v151, v109, s19, -v157
	v_add_f16_e32 v141, v145, v141
	v_mul_f16_e32 v145, 0xbacd, v105
	v_add_f16_e32 v33, v34, v33
	v_fma_f16 v34, v88, s19, -v125
	v_add_f16_e32 v175, v179, v175
	v_mul_f16_e32 v179, 0xb5c8, v126
	v_add_f16_e32 v150, v151, v150
	v_fma_f16 v151, v88, s20, v158
	v_fma_f16 v146, v84, s21, v145
	v_add_f16_e32 v34, v32, v34
	v_fma_f16 v35, v89, s20, -v129
	v_fma_f16 v180, v93, s17, -v179
	v_add_f16_e32 v151, v32, v151
	v_fma_f16 v152, v89, s7, v159
	v_add_f16_e32 v141, v146, v141
	v_mul_f16_e32 v146, 0xb461, v106
	v_add_f16_e32 v34, v35, v34
	v_fma_f16 v35, v91, s4, -v131
	v_add_f16_e32 v175, v180, v175
	v_mul_f16_e32 v180, 0xb1e1, v128
	v_add_f16_e32 v151, v152, v151
	v_fma_f16 v152, v91, s17, v160
	v_fma_f16 v147, v85, s26, v146
	v_add_f16_e32 v34, v35, v34
	v_fma_f16 v35, v92, s7, -v133
	v_fma_f16 v181, v94, s4, -v180
	v_add_f16_e32 v151, v152, v151
	v_fma_f16 v152, v92, s18, v161
	;; [unrolled: 14-line block ×4, first 2 shown]
	v_add_f16_e32 v141, v149, v141
	v_mul_f16_e32 v149, 0xb964, v110
	v_add_f16_e32 v34, v35, v34
	v_fma_f16 v35, v17, s31, v140
	v_add_f16_e32 v175, v183, v175
	v_mul_f16_e32 v183, 0xb1e1, v17
	v_add_f16_e32 v151, v152, v151
	v_fma_f16 v152, v88, s23, v149
	v_mul_f16_e32 v153, 0xbbf7, v111
	v_add_f16_e32 v35, v66, v35
	v_fma_f16 v36, v81, s16, v142
	v_fma_f16 v184, v100, s4, v183
	v_mul_f16_e32 v185, 0x35c8, v81
	v_add_f16_e32 v152, v32, v152
	v_fma_f16 v154, v89, s5, v153
	v_add_f16_e32 v35, v36, v35
	v_fma_f16 v36, v82, s28, v143
	;; [unrolled: 2-line block ×3, first 2 shown]
	v_add_f16_e32 v152, v154, v152
	v_mul_f16_e32 v154, 0xba62, v112
	v_add_f16_e32 v35, v36, v35
	v_fma_f16 v36, v83, s6, v144
	v_add_f16_e32 v184, v186, v184
	v_mul_f16_e32 v186, 0xb836, v82
	v_fma_f16 v155, v91, s20, v154
	v_add_f16_e32 v35, v36, v35
	v_fma_f16 v36, v84, s30, v145
	v_fma_f16 v187, v103, s18, v186
	v_add_f16_e32 v152, v155, v152
	v_mul_f16_e32 v155, 0xb1e1, v113
	v_add_f16_e32 v35, v36, v35
	v_fma_f16 v36, v85, s24, v146
	v_add_f16_e32 v184, v187, v184
	v_mul_f16_e32 v187, 0x3964, v83
	v_fma_f16 v156, v92, s4, v155
	v_add_f16_e32 v35, v36, v35
	v_fma_f16 v36, v86, s34, v147
	v_fma_f16 v188, v104, s23, v187
	v_add_f16_e32 v152, v156, v152
	v_mul_f16_e32 v156, 0x3836, v126
	v_add_f16_e32 v35, v36, v35
	v_fma_f16 v36, v87, s25, v148
	v_add_f16_e32 v184, v188, v184
	v_mul_f16_e32 v188, 0xba62, v84
	v_fma_f16 v157, v93, s18, v156
	v_add_f16_e32 v35, v36, v35
	v_fma_f16 v36, v88, s23, -v149
	v_fma_f16 v189, v105, s20, v188
	v_add_f16_e32 v152, v157, v152
	v_mul_f16_e32 v157, 0x3bb2, v128
	v_add_f16_e32 v36, v32, v36
	v_fma_f16 v37, v89, s5, -v153
	v_add_f16_e32 v184, v189, v184
	v_mul_f16_e32 v189, 0x3b29, v85
	v_fma_f16 v158, v94, s7, v157
	v_add_f16_e32 v36, v37, v36
	v_fma_f16 v37, v91, s20, -v154
	v_fma_f16 v190, v106, s19, v189
	v_add_f16_e32 v152, v158, v152
	v_mul_f16_e32 v158, 0x3b29, v130
	v_add_f16_e32 v36, v37, v36
	v_fma_f16 v37, v92, s4, -v155
	v_add_f16_e32 v184, v190, v184
	v_mul_f16_e32 v190, 0xbbb2, v86
	v_fma_f16 v159, v95, s19, v158
	v_add_f16_e32 v36, v37, v36
	v_fma_f16 v37, v93, s18, -v156
	v_fma_f16 v191, v107, s7, v190
	v_add_f16_e32 v152, v159, v152
	v_mul_f16_e32 v159, 0x35c8, v132
	v_add_f16_e32 v36, v37, v36
	v_fma_f16 v37, v94, s7, -v157
	v_add_f16_e32 v184, v191, v184
	v_mul_f16_e32 v191, 0x3bf7, v87
	v_fma_f16 v183, v100, s4, -v183
	v_fma_f16 v166, v100, s18, -v166
	v_fma_f16 v160, v96, s17, v159
	v_mul_f16_e32 v100, 0x3b76, v100
	v_add_f16_e32 v36, v37, v36
	v_fma_f16 v37, v95, s19, -v158
	v_fma_f16 v192, v109, s5, v191
	v_add_f16_e32 v183, v66, v183
	v_fma_f16 v185, v102, s17, -v185
	v_add_f16_e32 v166, v66, v166
	v_fma_f16 v167, v102, s19, -v167
	v_add_f16_e32 v152, v160, v152
	v_fma_f16 v160, v17, s25, v100
	v_mul_f16_e32 v102, 0x39e9, v102
	v_add_f16_e32 v36, v37, v36
	v_fma_f16 v37, v96, s17, -v159
	v_fma_f16 v17, v17, s29, v100
	v_add_f16_e32 v184, v192, v184
	v_mul_f16_e32 v192, 0xb1e1, v110
	v_add_f16_e32 v183, v185, v183
	v_fma_f16 v185, v103, s18, -v186
	v_add_f16_e32 v166, v167, v166
	v_fma_f16 v167, v103, s5, -v168
	v_add_f16_e32 v160, v66, v160
	v_fma_f16 v161, v81, s27, v102
	v_mul_f16_e32 v103, 0x3722, v103
	v_add_f16_e32 v22, v23, v22
	v_add_f16_e32 v23, v67, v66
	;; [unrolled: 1-line block ×4, first 2 shown]
	v_fma_f16 v37, v81, s31, v102
	v_fma_f16 v193, v88, s4, -v192
	v_mul_f16_e32 v194, 0x35c8, v111
	v_add_f16_e32 v183, v185, v183
	v_fma_f16 v185, v104, s23, -v187
	v_add_f16_e32 v166, v167, v166
	v_fma_f16 v167, v104, s20, -v169
	v_add_f16_e32 v160, v161, v160
	v_fma_f16 v161, v82, s34, v103
	v_mul_f16_e32 v104, 0x2de8, v104
	v_add_f16_e32 v23, v68, v23
	v_add_f16_e32 v17, v37, v17
	v_fma_f16 v37, v82, s22, v103
	v_add_f16_e32 v193, v32, v193
	v_fma_f16 v195, v89, s17, -v194
	v_add_f16_e32 v183, v185, v183
	v_fma_f16 v185, v105, s20, -v188
	;; [unrolled: 2-line block ×3, first 2 shown]
	v_add_f16_e32 v160, v161, v160
	v_fma_f16 v161, v83, s35, v104
	v_mul_f16_e32 v105, 0xb461, v105
	v_add_f16_e32 v23, v69, v23
	v_add_f16_e32 v17, v37, v17
	v_fma_f16 v37, v83, s16, v104
	v_add_f16_e32 v193, v195, v193
	v_mul_f16_e32 v195, 0xb836, v112
	v_add_f16_e32 v183, v185, v183
	v_fma_f16 v185, v106, s19, -v189
	v_add_f16_e32 v166, v167, v166
	v_fma_f16 v167, v106, s4, -v171
	v_add_f16_e32 v160, v161, v160
	v_fma_f16 v161, v84, s24, v105
	v_mul_f16_e32 v106, 0xb8d2, v106
	v_add_f16_e32 v23, v70, v23
	v_add_f16_e32 v17, v37, v17
	v_fma_f16 v37, v84, s26, v105
	v_fma_f16 v196, v91, s18, -v195
	v_add_f16_e32 v183, v185, v183
	v_fma_f16 v185, v107, s7, -v190
	v_add_f16_e32 v166, v167, v166
	;; [unrolled: 2-line block ×3, first 2 shown]
	v_fma_f16 v161, v85, s33, v106
	v_mul_f16_e32 v107, 0xbacd, v107
	v_add_f16_e32 v23, v71, v23
	v_add_f16_e32 v17, v37, v17
	v_fma_f16 v37, v85, s28, v106
	v_add_f16_e32 v193, v196, v193
	v_mul_f16_e32 v196, 0x3964, v113
	v_add_f16_e32 v183, v185, v183
	v_fma_f16 v185, v109, s5, -v191
	v_add_f16_e32 v166, v167, v166
	v_fma_f16 v167, v109, s7, -v173
	v_add_f16_e32 v160, v161, v160
	v_fma_f16 v161, v86, s30, v107
	v_mul_f16_e32 v109, 0xbbdd, v109
	v_add_f16_e32 v23, v72, v23
	v_add_f16_e32 v17, v37, v17
	v_fma_f16 v37, v86, s21, v107
	v_fma_f16 v197, v92, s23, -v196
	v_add_f16_e32 v160, v161, v160
	v_fma_f16 v161, v87, s36, v109
	v_mul_f16_e32 v110, 0xb5c8, v110
	v_add_f16_e32 v23, v73, v23
	v_add_f16_e32 v17, v37, v17
	v_fma_f16 v37, v87, s6, v109
	v_add_f16_e32 v193, v197, v193
	v_mul_f16_e32 v197, 0xba62, v126
	v_add_f16_e32 v183, v185, v183
	v_fma_f16 v185, v88, s4, v192
	v_add_f16_e32 v166, v167, v166
	v_fma_f16 v167, v88, s18, v174
	;; [unrolled: 2-line block ×3, first 2 shown]
	v_mul_f16_e32 v111, 0xb964, v111
	v_add_f16_e32 v23, v74, v23
	v_add_f16_e32 v17, v37, v17
	v_fma_f16 v37, v88, s17, -v110
	v_fma_f16 v198, v93, s20, -v197
	v_add_f16_e32 v185, v32, v185
	v_add_f16_e32 v167, v32, v167
	;; [unrolled: 1-line block ×3, first 2 shown]
	v_fma_f16 v162, v89, s23, v111
	v_mul_f16_e32 v112, 0xbb29, v112
	v_add_f16_e32 v23, v75, v23
	v_add_f16_e32 v32, v32, v37
	v_fma_f16 v37, v89, s23, -v111
	v_add_f16_e32 v193, v198, v193
	v_mul_f16_e32 v198, 0x3b29, v128
	v_add_f16_e32 v161, v162, v161
	v_fma_f16 v162, v91, s19, v112
	v_mul_f16_e32 v113, 0xbbf7, v113
	v_add_f16_e32 v23, v76, v23
	v_add_f16_e32 v32, v37, v32
	v_fma_f16 v37, v91, s19, -v112
	v_fma_f16 v199, v94, s19, -v198
	v_add_f16_e32 v161, v162, v161
	v_fma_f16 v162, v92, s5, v113
	v_mul_f16_e32 v126, 0xbbb2, v126
	v_add_f16_e32 v23, v77, v23
	v_add_f16_e32 v32, v37, v32
	v_fma_f16 v37, v92, s5, -v113
	v_add_f16_e32 v193, v199, v193
	v_mul_f16_e32 v199, 0xbbb2, v130
	v_fma_f16 v168, v89, s19, v176
	v_add_f16_e32 v161, v162, v161
	v_fma_f16 v162, v93, s7, v126
	v_mul_f16_e32 v128, 0xba62, v128
	v_add_f16_e32 v23, v78, v23
	v_add_f16_e32 v32, v37, v32
	v_fma_f16 v37, v93, s7, -v126
	v_fma_f16 v200, v95, s7, -v199
	v_fma_f16 v186, v89, s17, v194
	v_add_f16_e32 v167, v168, v167
	v_fma_f16 v168, v91, s5, v177
	v_add_f16_e32 v161, v162, v161
	v_fma_f16 v162, v94, s20, v128
	v_mul_f16_e32 v130, 0xb836, v130
	v_add_f16_e32 v23, v79, v23
	v_add_f16_e32 v32, v37, v32
	v_fma_f16 v37, v94, s20, -v128
	v_add_f16_e32 v193, v200, v193
	v_mul_f16_e32 v200, 0x3bf7, v132
	v_add_f16_e32 v185, v186, v185
	v_fma_f16 v186, v91, s18, v195
	v_add_f16_e32 v167, v168, v167
	v_fma_f16 v168, v92, s20, v178
	;; [unrolled: 2-line block ×3, first 2 shown]
	v_mul_f16_e32 v132, 0xb1e1, v132
	v_add_f16_e32 v23, v48, v23
	v_add_f16_e32 v32, v37, v32
	v_fma_f16 v37, v95, s18, -v130
	v_add_f16_e32 v185, v186, v185
	v_fma_f16 v186, v92, s23, v196
	v_add_f16_e32 v167, v168, v167
	v_fma_f16 v168, v93, s17, v179
	;; [unrolled: 2-line block ×3, first 2 shown]
	v_add_f16_e32 v23, v47, v23
	v_add_f16_e32 v32, v37, v32
	v_fma_f16 v37, v96, s4, -v132
	v_add_f16_e32 v185, v186, v185
	v_fma_f16 v186, v93, s20, v197
	v_add_f16_e32 v167, v168, v167
	v_fma_f16 v168, v94, s4, v180
	v_add_f16_e32 v161, v162, v161
	v_add_f16_e32 v22, v49, v22
	;; [unrolled: 1-line block ×4, first 2 shown]
	v_mul_lo_u16_e32 v37, 17, v18
	v_add_f16_e32 v185, v186, v185
	v_fma_f16 v186, v94, s19, v198
	v_add_f16_e32 v167, v168, v167
	v_fma_f16 v168, v95, s23, v181
	v_lshlrev_b32_e32 v37, 2, v37
	v_pack_b32_f16 v38, v161, v160
	v_pack_b32_f16 v22, v22, v23
	v_add_f16_e32 v185, v186, v185
	v_fma_f16 v186, v95, s7, v199
	v_add_f16_e32 v167, v168, v167
	v_fma_f16 v168, v96, s7, v182
	ds_write2_b32 v37, v22, v38 offset1:1
	v_pack_b32_f16 v22, v127, v117
	v_pack_b32_f16 v23, v152, v141
	v_fma_f16 v201, v96, s5, -v200
	v_add_f16_e32 v185, v186, v185
	v_fma_f16 v186, v96, s5, v200
	v_add_f16_e32 v167, v168, v167
	ds_write2_b32 v37, v23, v22 offset0:2 offset1:3
	v_pack_b32_f16 v22, v135, v134
	v_pack_b32_f16 v23, v115, v114
	v_add_f16_e32 v193, v201, v193
	v_add_f16_e32 v185, v186, v185
	ds_write2_b32 v37, v23, v22 offset0:4 offset1:5
	v_pack_b32_f16 v22, v167, v166
	v_pack_b32_f16 v23, v151, v150
	ds_write2_b32 v37, v23, v22 offset0:6 offset1:7
	v_pack_b32_f16 v22, v193, v184
	v_pack_b32_f16 v23, v185, v183
	;; [unrolled: 3-line block ×5, first 2 shown]
	v_pack_b32_f16 v17, v32, v17
	ds_write2_b32 v37, v23, v22 offset0:14 offset1:15
	ds_write_b32 v37, v17 offset:64
.LBB0_13:
	s_or_b64 exec, exec, s[0:1]
	v_add_u32_e32 v17, 0xa00, v21
	s_waitcnt lgkmcnt(0)
	s_barrier
	ds_read2_b32 v[38:39], v17 offset0:74 offset1:193
	v_add_u32_e32 v22, 0xe00, v21
	ds_read2_b32 v[40:41], v22 offset0:56 offset1:175
	v_add_u32_e32 v32, 0x1200, v21
	ds_read2_b32 v[44:45], v32 offset0:38 offset1:157
	s_waitcnt lgkmcnt(2)
	v_lshrrev_b32_e32 v66, 16, v39
	v_mul_f16_sdwa v79, v50, v66 dst_sel:DWORD dst_unused:UNUSED_PAD src0_sel:WORD_1 src1_sel:DWORD
	s_waitcnt lgkmcnt(1)
	v_lshrrev_b32_e32 v68, 16, v40
	v_fma_f16 v79, v50, v39, v79
	v_mul_f16_sdwa v39, v50, v39 dst_sel:DWORD dst_unused:UNUSED_PAD src0_sel:WORD_1 src1_sel:DWORD
	v_fma_f16 v39, v50, v66, -v39
	v_mul_f16_sdwa v50, v51, v68 dst_sel:DWORD dst_unused:UNUSED_PAD src0_sel:WORD_1 src1_sel:DWORD
	v_lshrrev_b32_e32 v70, 16, v41
	v_add_u32_e32 v33, 0x1600, v21
	v_fma_f16 v50, v51, v40, v50
	v_mul_f16_sdwa v40, v51, v40 dst_sel:DWORD dst_unused:UNUSED_PAD src0_sel:WORD_1 src1_sel:DWORD
	ds_read2_b32 v[48:49], v33 offset0:20 offset1:139
	v_fma_f16 v40, v51, v68, -v40
	v_mul_f16_sdwa v51, v52, v70 dst_sel:DWORD dst_unused:UNUSED_PAD src0_sel:WORD_1 src1_sel:DWORD
	s_waitcnt lgkmcnt(1)
	v_lshrrev_b32_e32 v72, 16, v44
	v_fma_f16 v51, v52, v41, v51
	v_mul_f16_sdwa v41, v52, v41 dst_sel:DWORD dst_unused:UNUSED_PAD src0_sel:WORD_1 src1_sel:DWORD
	v_fma_f16 v41, v52, v70, -v41
	v_mul_f16_sdwa v52, v53, v72 dst_sel:DWORD dst_unused:UNUSED_PAD src0_sel:WORD_1 src1_sel:DWORD
	v_lshrrev_b32_e32 v74, 16, v45
	v_fma_f16 v52, v53, v44, v52
	v_mul_f16_sdwa v44, v53, v44 dst_sel:DWORD dst_unused:UNUSED_PAD src0_sel:WORD_1 src1_sel:DWORD
	ds_read2_b32 v[36:37], v21 offset1:119
	v_fma_f16 v44, v53, v72, -v44
	v_mul_f16_sdwa v53, v54, v74 dst_sel:DWORD dst_unused:UNUSED_PAD src0_sel:WORD_1 src1_sel:DWORD
	v_add_u32_e32 v23, 0x200, v21
	s_waitcnt lgkmcnt(1)
	v_lshrrev_b32_e32 v76, 16, v48
	v_fma_f16 v53, v54, v45, v53
	v_mul_f16_sdwa v45, v54, v45 dst_sel:DWORD dst_unused:UNUSED_PAD src0_sel:WORD_1 src1_sel:DWORD
	ds_read2_b32 v[42:43], v23 offset0:110 offset1:229
	v_fma_f16 v45, v54, v74, -v45
	v_mul_f16_sdwa v54, v55, v76 dst_sel:DWORD dst_unused:UNUSED_PAD src0_sel:WORD_1 src1_sel:DWORD
	v_add_u32_e32 v34, 0x600, v21
	v_lshrrev_b32_e32 v78, 16, v49
	v_fma_f16 v54, v55, v48, v54
	v_mul_f16_sdwa v48, v55, v48 dst_sel:DWORD dst_unused:UNUSED_PAD src0_sel:WORD_1 src1_sel:DWORD
	ds_read2_b32 v[46:47], v34 offset0:92 offset1:211
	v_fma_f16 v48, v55, v76, -v48
	v_mul_f16_sdwa v55, v56, v78 dst_sel:DWORD dst_unused:UNUSED_PAD src0_sel:WORD_1 src1_sel:DWORD
	s_waitcnt lgkmcnt(2)
	v_lshrrev_b32_e32 v35, 16, v36
	v_fma_f16 v55, v56, v49, v55
	v_mul_f16_sdwa v49, v56, v49 dst_sel:DWORD dst_unused:UNUSED_PAD src0_sel:WORD_1 src1_sel:DWORD
	v_lshrrev_b32_e32 v67, 16, v37
	v_fma_f16 v49, v56, v78, -v49
	v_sub_f16_e32 v56, v36, v79
	v_sub_f16_e32 v39, v35, v39
	s_waitcnt lgkmcnt(1)
	v_lshrrev_b32_e32 v69, 16, v42
	v_fma_f16 v36, v36, 2.0, -v56
	v_fma_f16 v35, v35, 2.0, -v39
	v_sub_f16_e32 v50, v37, v50
	v_sub_f16_e32 v40, v67, v40
	v_lshrrev_b32_e32 v71, 16, v43
	v_fma_f16 v37, v37, 2.0, -v50
	v_fma_f16 v66, v67, 2.0, -v40
	v_sub_f16_e32 v51, v42, v51
	v_sub_f16_e32 v41, v69, v41
	v_pack_b32_f16 v35, v36, v35
	v_pack_b32_f16 v36, v56, v39
	s_waitcnt lgkmcnt(0)
	v_lshrrev_b32_e32 v73, 16, v46
	v_fma_f16 v42, v42, 2.0, -v51
	v_fma_f16 v67, v69, 2.0, -v41
	v_sub_f16_e32 v52, v43, v52
	v_sub_f16_e32 v44, v71, v44
	s_barrier
	ds_write2_b32 v57, v35, v36 offset1:17
	v_pack_b32_f16 v35, v37, v66
	v_pack_b32_f16 v36, v50, v40
	v_lshrrev_b32_e32 v75, 16, v47
	v_fma_f16 v43, v43, 2.0, -v52
	v_fma_f16 v68, v71, 2.0, -v44
	v_sub_f16_e32 v53, v46, v53
	v_sub_f16_e32 v45, v73, v45
	ds_write2_b32 v58, v35, v36 offset1:17
	v_pack_b32_f16 v35, v42, v67
	v_pack_b32_f16 v36, v51, v41
	v_lshrrev_b32_e32 v77, 16, v38
	v_fma_f16 v46, v46, 2.0, -v53
	v_fma_f16 v69, v73, 2.0, -v45
	v_sub_f16_e32 v54, v47, v54
	v_sub_f16_e32 v48, v75, v48
	ds_write2_b32 v59, v35, v36 offset1:17
	v_pack_b32_f16 v35, v43, v68
	v_pack_b32_f16 v36, v52, v44
	v_fma_f16 v47, v47, 2.0, -v54
	v_fma_f16 v70, v75, 2.0, -v48
	v_sub_f16_e32 v55, v38, v55
	v_sub_f16_e32 v49, v77, v49
	ds_write2_b32 v60, v35, v36 offset1:17
	v_pack_b32_f16 v35, v46, v69
	v_pack_b32_f16 v36, v53, v45
	v_fma_f16 v38, v38, 2.0, -v55
	v_fma_f16 v71, v77, 2.0, -v49
	ds_write2_b32 v61, v35, v36 offset1:17
	v_pack_b32_f16 v35, v47, v70
	v_pack_b32_f16 v36, v54, v48
	ds_write2_b32 v62, v35, v36 offset1:17
	v_pack_b32_f16 v35, v38, v71
	v_pack_b32_f16 v36, v55, v49
	ds_write2_b32 v63, v35, v36 offset1:17
	s_waitcnt lgkmcnt(0)
	s_barrier
	ds_read2_b32 v[36:37], v23 offset0:110 offset1:229
	ds_read2_b32 v[38:39], v21 offset1:119
	ds_read2_b32 v[40:41], v34 offset0:92 offset1:211
	ds_read2_b32 v[42:43], v17 offset0:74 offset1:193
	;; [unrolled: 1-line block ×5, first 2 shown]
	s_waitcnt lgkmcnt(4)
	v_lshrrev_b32_e32 v50, 16, v40
	s_waitcnt lgkmcnt(3)
	v_lshrrev_b32_e32 v51, 16, v42
	v_lshrrev_b32_e32 v35, 16, v36
	v_mul_f16_sdwa v61, v0, v35 dst_sel:DWORD dst_unused:UNUSED_PAD src0_sel:WORD_1 src1_sel:DWORD
	v_fma_f16 v61, v0, v36, v61
	v_mul_f16_sdwa v36, v0, v36 dst_sel:DWORD dst_unused:UNUSED_PAD src0_sel:WORD_1 src1_sel:DWORD
	v_fma_f16 v0, v0, v35, -v36
	v_mul_f16_sdwa v35, v1, v50 dst_sel:DWORD dst_unused:UNUSED_PAD src0_sel:WORD_1 src1_sel:DWORD
	v_mul_f16_sdwa v36, v1, v40 dst_sel:DWORD dst_unused:UNUSED_PAD src0_sel:WORD_1 src1_sel:DWORD
	s_waitcnt lgkmcnt(2)
	v_lshrrev_b32_e32 v52, 16, v44
	v_fma_f16 v35, v1, v40, v35
	v_fma_f16 v1, v1, v50, -v36
	v_mul_f16_sdwa v36, v2, v51 dst_sel:DWORD dst_unused:UNUSED_PAD src0_sel:WORD_1 src1_sel:DWORD
	v_mul_f16_sdwa v40, v2, v42 dst_sel:DWORD dst_unused:UNUSED_PAD src0_sel:WORD_1 src1_sel:DWORD
	s_waitcnt lgkmcnt(1)
	v_lshrrev_b32_e32 v53, 16, v46
	v_fma_f16 v36, v2, v42, v36
	;; [unrolled: 6-line block ×3, first 2 shown]
	v_fma_f16 v3, v3, v52, -v42
	v_mul_f16_sdwa v42, v24, v53 dst_sel:DWORD dst_unused:UNUSED_PAD src0_sel:WORD_1 src1_sel:DWORD
	v_mul_f16_sdwa v44, v24, v46 dst_sel:DWORD dst_unused:UNUSED_PAD src0_sel:WORD_1 src1_sel:DWORD
	v_lshrrev_b32_e32 v55, 16, v37
	v_fma_f16 v42, v24, v46, v42
	v_fma_f16 v24, v24, v53, -v44
	v_mul_f16_sdwa v44, v25, v54 dst_sel:DWORD dst_unused:UNUSED_PAD src0_sel:WORD_1 src1_sel:DWORD
	v_mul_f16_sdwa v46, v25, v48 dst_sel:DWORD dst_unused:UNUSED_PAD src0_sel:WORD_1 src1_sel:DWORD
	v_fma_f16 v44, v25, v48, v44
	v_fma_f16 v25, v25, v54, -v46
	v_mul_f16_sdwa v46, v4, v55 dst_sel:DWORD dst_unused:UNUSED_PAD src0_sel:WORD_1 src1_sel:DWORD
	v_lshrrev_b32_e32 v56, 16, v41
	v_fma_f16 v46, v4, v37, v46
	v_mul_f16_sdwa v37, v4, v37 dst_sel:DWORD dst_unused:UNUSED_PAD src0_sel:WORD_1 src1_sel:DWORD
	v_fma_f16 v4, v4, v55, -v37
	v_mul_f16_sdwa v37, v5, v56 dst_sel:DWORD dst_unused:UNUSED_PAD src0_sel:WORD_1 src1_sel:DWORD
	v_lshrrev_b32_e32 v57, 16, v43
	v_fma_f16 v37, v5, v41, v37
	v_mul_f16_sdwa v41, v5, v41 dst_sel:DWORD dst_unused:UNUSED_PAD src0_sel:WORD_1 src1_sel:DWORD
	v_fma_f16 v5, v5, v56, -v41
	v_mul_f16_sdwa v41, v6, v57 dst_sel:DWORD dst_unused:UNUSED_PAD src0_sel:WORD_1 src1_sel:DWORD
	v_lshrrev_b32_e32 v58, 16, v45
	v_fma_f16 v41, v6, v43, v41
	v_mul_f16_sdwa v43, v6, v43 dst_sel:DWORD dst_unused:UNUSED_PAD src0_sel:WORD_1 src1_sel:DWORD
	v_fma_f16 v6, v6, v57, -v43
	v_mul_f16_sdwa v43, v7, v58 dst_sel:DWORD dst_unused:UNUSED_PAD src0_sel:WORD_1 src1_sel:DWORD
	v_lshrrev_b32_e32 v59, 16, v47
	v_fma_f16 v43, v7, v45, v43
	v_mul_f16_sdwa v45, v7, v45 dst_sel:DWORD dst_unused:UNUSED_PAD src0_sel:WORD_1 src1_sel:DWORD
	v_fma_f16 v7, v7, v58, -v45
	v_mul_f16_sdwa v45, v26, v59 dst_sel:DWORD dst_unused:UNUSED_PAD src0_sel:WORD_1 src1_sel:DWORD
	v_lshrrev_b32_e32 v60, 16, v49
	v_fma_f16 v45, v26, v47, v45
	v_mul_f16_sdwa v47, v26, v47 dst_sel:DWORD dst_unused:UNUSED_PAD src0_sel:WORD_1 src1_sel:DWORD
	v_fma_f16 v26, v26, v59, -v47
	v_mul_f16_sdwa v47, v27, v60 dst_sel:DWORD dst_unused:UNUSED_PAD src0_sel:WORD_1 src1_sel:DWORD
	v_mul_f16_sdwa v48, v27, v49 dst_sel:DWORD dst_unused:UNUSED_PAD src0_sel:WORD_1 src1_sel:DWORD
	v_fma_f16 v47, v27, v49, v47
	v_fma_f16 v27, v27, v60, -v48
	v_add_f16_e32 v48, v61, v44
	v_add_f16_e32 v49, v0, v25
	v_sub_f16_e32 v0, v0, v25
	v_add_f16_e32 v25, v35, v42
	v_add_f16_e32 v50, v1, v24
	v_sub_f16_e32 v44, v61, v44
	v_sub_f16_e32 v35, v35, v42
	v_sub_f16_e32 v1, v1, v24
	v_add_f16_e32 v24, v36, v40
	v_add_f16_e32 v42, v2, v3
	v_sub_f16_e32 v36, v40, v36
	v_sub_f16_e32 v2, v3, v2
	v_add_f16_e32 v3, v25, v48
	v_add_f16_e32 v40, v50, v49
	v_sub_f16_e32 v51, v25, v48
	v_sub_f16_e32 v52, v50, v49
	;; [unrolled: 1-line block ×6, first 2 shown]
	v_add_f16_e32 v53, v36, v35
	v_add_f16_e32 v54, v2, v1
	v_sub_f16_e32 v55, v36, v35
	v_sub_f16_e32 v56, v2, v1
	;; [unrolled: 1-line block ×4, first 2 shown]
	v_add_f16_e32 v3, v24, v3
	v_add_f16_e32 v24, v42, v40
	v_sub_f16_e32 v36, v44, v36
	v_sub_f16_e32 v2, v0, v2
	v_add_f16_e32 v40, v53, v44
	v_add_f16_e32 v0, v54, v0
	;; [unrolled: 1-line block ×3, first 2 shown]
	v_add_f16_sdwa v38, v38, v24 dst_sel:DWORD dst_unused:UNUSED_PAD src0_sel:WORD_1 src1_sel:DWORD
	v_mul_f16_e32 v44, 0x3a52, v48
	v_mul_f16_e32 v48, 0x3a52, v49
	s_movk_i32 s1, 0x2b26
	v_mul_f16_e32 v49, 0x2b26, v25
	v_mul_f16_e32 v53, 0x2b26, v50
	;; [unrolled: 1-line block ×4, first 2 shown]
	s_mov_b32 s0, 0xbb00
	v_mul_f16_e32 v56, 0xbb00, v35
	v_mul_f16_e32 v57, 0xbb00, v1
	s_mov_b32 s4, 0xbcab
	s_movk_i32 s5, 0x39e0
	s_mov_b32 s7, 0xb9e0
	s_mov_b32 s16, 0xb574
	s_movk_i32 s17, 0x3574
	v_fma_f16 v3, v3, s4, v42
	v_fma_f16 v24, v24, s4, v38
	;; [unrolled: 1-line block ×4, first 2 shown]
	v_fma_f16 v49, v51, s5, -v49
	v_fma_f16 v53, v52, s5, -v53
	;; [unrolled: 1-line block ×4, first 2 shown]
	v_fma_f16 v51, v36, s16, v54
	v_fma_f16 v52, v2, s16, v55
	v_fma_f16 v1, v1, s0, -v55
	v_fma_f16 v36, v36, s17, -v56
	v_fma_f16 v2, v2, s17, -v57
	s_mov_b32 s6, 0xb70e
	v_fma_f16 v35, v35, s0, -v54
	v_add_f16_e32 v25, v25, v3
	v_add_f16_e32 v50, v50, v24
	;; [unrolled: 1-line block ×6, first 2 shown]
	v_fma_f16 v44, v40, s6, v51
	v_fma_f16 v48, v0, s6, v52
	;; [unrolled: 1-line block ×6, first 2 shown]
	v_add_f16_e32 v2, v48, v25
	v_sub_f16_e32 v40, v50, v44
	v_add_f16_e32 v51, v0, v3
	v_sub_f16_e32 v52, v24, v36
	v_sub_f16_e32 v0, v3, v0
	v_add_f16_e32 v3, v36, v24
	v_sub_f16_e32 v24, v25, v48
	v_add_f16_e32 v25, v44, v50
	v_add_f16_e32 v36, v46, v47
	;; [unrolled: 1-line block ×3, first 2 shown]
	v_sub_f16_e32 v46, v46, v47
	v_sub_f16_e32 v4, v4, v27
	v_add_f16_e32 v27, v37, v45
	v_add_f16_e32 v47, v5, v26
	v_sub_f16_e32 v37, v37, v45
	v_sub_f16_e32 v5, v5, v26
	v_add_f16_e32 v26, v41, v43
	v_add_f16_e32 v45, v6, v7
	v_sub_f16_e32 v41, v43, v41
	v_sub_f16_e32 v6, v7, v6
	v_add_f16_e32 v7, v27, v36
	v_add_f16_e32 v43, v47, v44
	v_sub_f16_e32 v54, v49, v1
	v_add_f16_e32 v55, v35, v53
	v_add_f16_e32 v1, v1, v49
	v_sub_f16_e32 v35, v53, v35
	v_sub_f16_e32 v48, v27, v36
	;; [unrolled: 1-line block ×7, first 2 shown]
	v_add_f16_e32 v50, v41, v37
	v_add_f16_e32 v53, v6, v5
	v_sub_f16_e32 v56, v41, v37
	v_sub_f16_e32 v57, v6, v5
	;; [unrolled: 1-line block ×4, first 2 shown]
	v_add_f16_e32 v7, v26, v7
	v_add_f16_e32 v26, v45, v43
	v_sub_f16_e32 v41, v46, v41
	v_sub_f16_e32 v6, v4, v6
	v_add_f16_e32 v43, v50, v46
	v_add_f16_e32 v4, v53, v4
	;; [unrolled: 1-line block ×3, first 2 shown]
	v_add_f16_sdwa v39, v39, v26 dst_sel:DWORD dst_unused:UNUSED_PAD src0_sel:WORD_1 src1_sel:DWORD
	v_mul_f16_e32 v36, 0x3a52, v36
	v_mul_f16_e32 v44, 0x3a52, v44
	;; [unrolled: 1-line block ×8, first 2 shown]
	v_fma_f16 v7, v7, s4, v45
	v_fma_f16 v26, v26, s4, v39
	;; [unrolled: 1-line block ×4, first 2 shown]
	v_fma_f16 v46, v48, s5, -v46
	v_fma_f16 v50, v49, s5, -v50
	;; [unrolled: 1-line block ×4, first 2 shown]
	v_fma_f16 v48, v41, s16, v53
	v_fma_f16 v49, v6, s16, v56
	v_fma_f16 v5, v5, s0, -v56
	v_fma_f16 v41, v41, s17, -v57
	;; [unrolled: 1-line block ×4, first 2 shown]
	v_add_f16_e32 v27, v27, v7
	v_add_f16_e32 v47, v47, v26
	;; [unrolled: 1-line block ×6, first 2 shown]
	v_fma_f16 v36, v43, s6, v48
	v_fma_f16 v44, v4, s6, v49
	v_fma_f16 v5, v4, s6, v5
	v_fma_f16 v41, v43, s6, v41
	v_fma_f16 v4, v4, s6, v6
	v_pack_b32_f16 v1, v1, v35
	v_pack_b32_f16 v0, v0, v3
	v_fma_f16 v37, v43, s6, v37
	v_add_f16_e32 v6, v44, v27
	v_sub_f16_e32 v43, v47, v36
	v_add_f16_e32 v48, v4, v7
	v_sub_f16_e32 v49, v26, v41
	v_sub_f16_e32 v4, v7, v4
	v_add_f16_e32 v7, v41, v26
	v_sub_f16_e32 v26, v27, v44
	v_add_f16_e32 v27, v36, v47
	s_barrier
	v_pack_b32_f16 v36, v42, v38
	v_pack_b32_f16 v2, v2, v40
	ds_write2_b32 v64, v1, v0 offset0:136 offset1:170
	v_pack_b32_f16 v0, v24, v25
	v_sub_f16_e32 v53, v46, v5
	v_add_f16_e32 v56, v37, v50
	ds_write2_b32 v64, v36, v2 offset1:34
	v_pack_b32_f16 v2, v51, v52
	v_pack_b32_f16 v36, v54, v55
	ds_write_b32 v64, v0 offset:816
	v_pack_b32_f16 v0, v45, v39
	v_pack_b32_f16 v1, v6, v43
	v_add_f16_e32 v5, v5, v46
	v_sub_f16_e32 v37, v50, v37
	ds_write2_b32 v64, v2, v36 offset0:68 offset1:102
	ds_write2_b32 v65, v0, v1 offset1:34
	v_pack_b32_f16 v0, v48, v49
	v_pack_b32_f16 v1, v53, v56
	ds_write2_b32 v65, v0, v1 offset0:68 offset1:102
	v_pack_b32_f16 v0, v5, v37
	v_pack_b32_f16 v1, v4, v7
	ds_write2_b32 v65, v0, v1 offset0:136 offset1:170
	v_pack_b32_f16 v0, v26, v27
	ds_write_b32 v65, v0 offset:816
	s_waitcnt lgkmcnt(0)
	s_barrier
	ds_read2_b32 v[0:1], v23 offset0:110 offset1:229
	ds_read2_b32 v[2:3], v21 offset1:119
	ds_read2_b32 v[4:5], v34 offset0:92 offset1:211
	ds_read2_b32 v[6:7], v17 offset0:74 offset1:193
	;; [unrolled: 1-line block ×5, first 2 shown]
	s_waitcnt lgkmcnt(4)
	v_lshrrev_b32_e32 v38, 16, v4
	s_waitcnt lgkmcnt(3)
	v_lshrrev_b32_e32 v39, 16, v6
	v_lshrrev_b32_e32 v35, 16, v0
	v_mul_f16_sdwa v49, v8, v35 dst_sel:DWORD dst_unused:UNUSED_PAD src0_sel:WORD_1 src1_sel:DWORD
	v_fma_f16 v49, v8, v0, v49
	v_mul_f16_sdwa v0, v8, v0 dst_sel:DWORD dst_unused:UNUSED_PAD src0_sel:WORD_1 src1_sel:DWORD
	v_fma_f16 v0, v8, v35, -v0
	v_mul_f16_sdwa v8, v9, v38 dst_sel:DWORD dst_unused:UNUSED_PAD src0_sel:WORD_1 src1_sel:DWORD
	v_fma_f16 v8, v9, v4, v8
	v_mul_f16_sdwa v4, v9, v4 dst_sel:DWORD dst_unused:UNUSED_PAD src0_sel:WORD_1 src1_sel:DWORD
	v_fma_f16 v4, v9, v38, -v4
	v_mul_f16_sdwa v9, v10, v39 dst_sel:DWORD dst_unused:UNUSED_PAD src0_sel:WORD_1 src1_sel:DWORD
	s_waitcnt lgkmcnt(2)
	v_lshrrev_b32_e32 v40, 16, v24
	v_fma_f16 v9, v10, v6, v9
	v_mul_f16_sdwa v6, v10, v6 dst_sel:DWORD dst_unused:UNUSED_PAD src0_sel:WORD_1 src1_sel:DWORD
	v_fma_f16 v6, v10, v39, -v6
	v_mul_f16_sdwa v10, v11, v40 dst_sel:DWORD dst_unused:UNUSED_PAD src0_sel:WORD_1 src1_sel:DWORD
	s_waitcnt lgkmcnt(1)
	v_lshrrev_b32_e32 v41, 16, v26
	;; [unrolled: 6-line block ×3, first 2 shown]
	v_fma_f16 v24, v28, v26, v24
	v_mul_f16_sdwa v26, v28, v26 dst_sel:DWORD dst_unused:UNUSED_PAD src0_sel:WORD_1 src1_sel:DWORD
	v_lshrrev_b32_e32 v43, 16, v1
	v_fma_f16 v26, v28, v41, -v26
	v_mul_f16_sdwa v28, v29, v42 dst_sel:DWORD dst_unused:UNUSED_PAD src0_sel:WORD_1 src1_sel:DWORD
	v_mul_f16_sdwa v35, v29, v36 dst_sel:DWORD dst_unused:UNUSED_PAD src0_sel:WORD_1 src1_sel:DWORD
	v_fma_f16 v28, v29, v36, v28
	v_fma_f16 v29, v29, v42, -v35
	v_mul_f16_sdwa v35, v12, v43 dst_sel:DWORD dst_unused:UNUSED_PAD src0_sel:WORD_1 src1_sel:DWORD
	v_lshrrev_b32_e32 v44, 16, v5
	v_fma_f16 v35, v12, v1, v35
	v_mul_f16_sdwa v1, v12, v1 dst_sel:DWORD dst_unused:UNUSED_PAD src0_sel:WORD_1 src1_sel:DWORD
	v_fma_f16 v1, v12, v43, -v1
	v_mul_f16_sdwa v12, v13, v44 dst_sel:DWORD dst_unused:UNUSED_PAD src0_sel:WORD_1 src1_sel:DWORD
	v_lshrrev_b32_e32 v45, 16, v7
	v_fma_f16 v12, v13, v5, v12
	v_mul_f16_sdwa v5, v13, v5 dst_sel:DWORD dst_unused:UNUSED_PAD src0_sel:WORD_1 src1_sel:DWORD
	;; [unrolled: 5-line block ×5, first 2 shown]
	v_fma_f16 v27, v30, v47, -v27
	v_mul_f16_sdwa v30, v31, v48 dst_sel:DWORD dst_unused:UNUSED_PAD src0_sel:WORD_1 src1_sel:DWORD
	v_mul_f16_sdwa v36, v31, v37 dst_sel:DWORD dst_unused:UNUSED_PAD src0_sel:WORD_1 src1_sel:DWORD
	v_fma_f16 v30, v31, v37, v30
	v_fma_f16 v31, v31, v48, -v36
	v_add_f16_e32 v36, v49, v28
	v_add_f16_e32 v37, v0, v29
	v_sub_f16_e32 v0, v0, v29
	v_add_f16_e32 v29, v8, v24
	v_add_f16_e32 v38, v4, v26
	v_sub_f16_e32 v28, v49, v28
	v_sub_f16_e32 v8, v8, v24
	v_sub_f16_e32 v4, v4, v26
	v_add_f16_e32 v24, v9, v10
	v_add_f16_e32 v26, v6, v11
	v_sub_f16_e32 v9, v10, v9
	v_sub_f16_e32 v6, v11, v6
	v_add_f16_e32 v10, v29, v36
	v_add_f16_e32 v11, v38, v37
	v_sub_f16_e32 v39, v29, v36
	v_sub_f16_e32 v40, v38, v37
	;; [unrolled: 1-line block ×6, first 2 shown]
	v_add_f16_e32 v41, v9, v8
	v_add_f16_e32 v42, v6, v4
	v_sub_f16_e32 v43, v9, v8
	v_sub_f16_e32 v44, v6, v4
	;; [unrolled: 1-line block ×4, first 2 shown]
	v_add_f16_e32 v10, v24, v10
	v_add_f16_e32 v11, v26, v11
	v_sub_f16_e32 v9, v28, v9
	v_sub_f16_e32 v6, v0, v6
	v_add_f16_e32 v24, v41, v28
	v_add_f16_e32 v0, v42, v0
	;; [unrolled: 1-line block ×3, first 2 shown]
	v_add_f16_sdwa v2, v2, v11 dst_sel:DWORD dst_unused:UNUSED_PAD src0_sel:WORD_1 src1_sel:DWORD
	v_mul_f16_e32 v28, 0x3a52, v36
	v_mul_f16_e32 v36, 0x3a52, v37
	;; [unrolled: 1-line block ×8, first 2 shown]
	v_fma_f16 v10, v10, s4, v26
	v_fma_f16 v11, v11, s4, v2
	;; [unrolled: 1-line block ×4, first 2 shown]
	v_fma_f16 v37, v39, s5, -v37
	v_fma_f16 v41, v40, s5, -v41
	;; [unrolled: 1-line block ×4, first 2 shown]
	v_fma_f16 v39, v9, s16, v42
	v_fma_f16 v40, v6, s16, v43
	v_fma_f16 v4, v4, s0, -v43
	v_fma_f16 v9, v9, s17, -v44
	;; [unrolled: 1-line block ×4, first 2 shown]
	v_add_f16_e32 v29, v29, v10
	v_add_f16_e32 v38, v38, v11
	;; [unrolled: 1-line block ×6, first 2 shown]
	v_fma_f16 v28, v24, s6, v39
	v_fma_f16 v36, v0, s6, v40
	;; [unrolled: 1-line block ×6, first 2 shown]
	v_add_f16_e32 v6, v36, v29
	v_sub_f16_e32 v24, v38, v28
	v_add_f16_e32 v39, v0, v10
	v_sub_f16_e32 v40, v11, v9
	v_sub_f16_e32 v0, v10, v0
	v_add_f16_e32 v9, v9, v11
	v_sub_f16_e32 v10, v29, v36
	v_add_f16_e32 v11, v28, v38
	v_add_f16_e32 v28, v35, v30
	;; [unrolled: 1-line block ×3, first 2 shown]
	v_sub_f16_e32 v30, v35, v30
	v_sub_f16_e32 v1, v1, v31
	v_add_f16_e32 v31, v12, v25
	v_add_f16_e32 v35, v5, v27
	v_sub_f16_e32 v12, v12, v25
	v_sub_f16_e32 v5, v5, v27
	v_add_f16_e32 v25, v13, v14
	v_add_f16_e32 v27, v7, v15
	;; [unrolled: 4-line block ×3, first 2 shown]
	v_sub_f16_e32 v42, v37, v4
	v_add_f16_e32 v43, v8, v41
	v_add_f16_e32 v4, v4, v37
	v_sub_f16_e32 v8, v41, v8
	v_sub_f16_e32 v36, v31, v28
	;; [unrolled: 1-line block ×7, first 2 shown]
	v_add_f16_e32 v38, v13, v12
	v_add_f16_e32 v41, v7, v5
	v_sub_f16_e32 v44, v13, v12
	v_sub_f16_e32 v45, v7, v5
	v_add_f16_e32 v14, v25, v14
	v_add_f16_e32 v15, v27, v15
	v_sub_f16_e32 v13, v30, v13
	v_sub_f16_e32 v7, v1, v7
	;; [unrolled: 1-line block ×4, first 2 shown]
	v_add_f16_e32 v25, v38, v30
	v_add_f16_e32 v1, v41, v1
	;; [unrolled: 1-line block ×3, first 2 shown]
	v_add_f16_sdwa v3, v3, v15 dst_sel:DWORD dst_unused:UNUSED_PAD src0_sel:WORD_1 src1_sel:DWORD
	v_mul_f16_e32 v28, 0x3a52, v28
	v_mul_f16_e32 v29, 0x3a52, v29
	;; [unrolled: 1-line block ×8, first 2 shown]
	v_fma_f16 v14, v14, s4, v27
	v_fma_f16 v15, v15, s4, v3
	;; [unrolled: 1-line block ×4, first 2 shown]
	v_fma_f16 v30, v36, s5, -v30
	v_fma_f16 v38, v37, s5, -v38
	;; [unrolled: 1-line block ×4, first 2 shown]
	v_fma_f16 v36, v13, s16, v41
	v_fma_f16 v37, v7, s16, v44
	v_fma_f16 v12, v12, s0, -v41
	v_fma_f16 v5, v5, s0, -v44
	;; [unrolled: 1-line block ×4, first 2 shown]
	v_add_f16_e32 v31, v31, v14
	v_add_f16_e32 v35, v35, v15
	;; [unrolled: 1-line block ×6, first 2 shown]
	v_fma_f16 v28, v25, s6, v36
	v_fma_f16 v29, v1, s6, v37
	;; [unrolled: 1-line block ×6, first 2 shown]
	v_add_f16_e32 v7, v29, v31
	v_sub_f16_e32 v25, v35, v28
	v_pack_b32_f16 v2, v26, v2
	v_pack_b32_f16 v3, v27, v3
	v_add_f16_e32 v36, v1, v14
	v_sub_f16_e32 v37, v15, v13
	v_pack_b32_f16 v6, v6, v24
	ds_write2_b32 v21, v2, v3 offset1:119
	v_pack_b32_f16 v2, v7, v25
	v_sub_f16_e32 v41, v30, v5
	v_add_f16_e32 v44, v12, v38
	v_sub_f16_e32 v1, v14, v1
	v_add_f16_e32 v13, v13, v15
	v_pack_b32_f16 v24, v39, v40
	ds_write2_b32 v23, v6, v2 offset0:110 offset1:229
	v_pack_b32_f16 v2, v36, v37
	v_add_f16_e32 v5, v5, v30
	v_sub_f16_e32 v12, v38, v12
	v_sub_f16_e32 v14, v31, v29
	v_add_f16_e32 v15, v28, v35
	v_pack_b32_f16 v26, v42, v43
	v_pack_b32_f16 v0, v0, v9
	ds_write2_b32 v34, v24, v2 offset0:92 offset1:211
	v_pack_b32_f16 v2, v41, v44
	v_pack_b32_f16 v1, v1, v13
	;; [unrolled: 1-line block ×4, first 2 shown]
	ds_write2_b32 v17, v26, v2 offset0:74 offset1:193
	v_pack_b32_f16 v2, v5, v12
	ds_write2_b32 v32, v0, v1 offset0:38 offset1:157
	v_pack_b32_f16 v0, v14, v15
	ds_write2_b32 v22, v4, v2 offset0:56 offset1:175
	ds_write2_b32 v33, v8, v0 offset0:20 offset1:139
	s_waitcnt lgkmcnt(0)
	s_barrier
	s_and_b64 exec, exec, s[2:3]
	s_cbranch_execz .LBB0_15
; %bb.14:
	global_load_dword v3, v16, s[12:13]
	ds_read_b32 v12, v21
	v_mad_u64_u32 v[4:5], s[0:1], s10, v20, 0
	v_mad_u64_u32 v[6:7], s[0:1], s8, v18, 0
	v_mov_b32_e32 v8, v5
	s_waitcnt lgkmcnt(0)
	v_lshrrev_b32_e32 v5, 16, v12
	v_mov_b32_e32 v10, v7
	v_mad_u64_u32 v[8:9], s[0:1], s11, v20, v[8:9]
	s_mov_b32 s6, 0xca869b81
	s_mov_b32 s7, 0x3f43ab2d
	v_mad_u64_u32 v[10:11], s[0:1], s9, v18, v[10:11]
	s_movk_i32 s16, 0x1ff
	v_mov_b32_e32 v1, s15
	s_movk_i32 s15, 0xffe
	v_mov_b32_e32 v2, 0x7c00
	s_movk_i32 s10, 0x40f
	v_mov_b32_e32 v0, s14
	s_mov_b32 s14, 0x8000
	s_mov_b32 s17, 0xffff
	s_mulk_i32 s9, 0x188
	s_waitcnt vmcnt(0)
	v_mul_f16_sdwa v7, v5, v3 dst_sel:DWORD dst_unused:UNUSED_PAD src0_sel:DWORD src1_sel:WORD_1
	v_mul_f16_sdwa v9, v12, v3 dst_sel:DWORD dst_unused:UNUSED_PAD src0_sel:DWORD src1_sel:WORD_1
	v_fma_f16 v7, v12, v3, v7
	v_fma_f16 v3, v3, v5, -v9
	v_cvt_f32_f16_e32 v9, v7
	v_cvt_f32_f16_e32 v3, v3
	v_mov_b32_e32 v5, v8
	v_mov_b32_e32 v7, v10
	v_cvt_f64_f32_e32 v[8:9], v9
	v_cvt_f64_f32_e32 v[10:11], v3
	v_mul_f64 v[8:9], v[8:9], s[6:7]
	v_mul_f64 v[10:11], v[10:11], s[6:7]
	v_and_or_b32 v3, v9, s16, v8
	v_and_or_b32 v10, v11, s16, v10
	v_cmp_ne_u32_e32 vcc, 0, v3
	v_lshrrev_b32_e32 v8, 8, v9
	v_bfe_u32 v12, v9, 20, 11
	v_cndmask_b32_e64 v3, 0, 1, vcc
	v_cmp_ne_u32_e32 vcc, 0, v10
	v_lshrrev_b32_e32 v13, 8, v11
	v_bfe_u32 v14, v11, 20, 11
	v_sub_u32_e32 v15, 0x3f1, v12
	v_cndmask_b32_e64 v10, 0, 1, vcc
	v_and_or_b32 v3, v8, s15, v3
	v_sub_u32_e32 v17, 0x3f1, v14
	v_med3_i32 v8, v15, 0, 13
	v_and_or_b32 v10, v13, s15, v10
	v_or_b32_e32 v15, 0x1000, v3
	v_add_u32_e32 v12, 0xfffffc10, v12
	v_med3_i32 v13, v17, 0, 13
	v_cmp_ne_u32_e32 vcc, 0, v3
	v_or_b32_e32 v18, 0x1000, v10
	v_lshrrev_b32_e32 v21, v8, v15
	v_add_u32_e32 v14, 0xfffffc10, v14
	v_lshl_or_b32 v17, v12, 12, v3
	v_cndmask_b32_e64 v3, 0, 1, vcc
	v_cmp_ne_u32_e32 vcc, 0, v10
	v_lshrrev_b32_e32 v22, v13, v18
	v_lshlrev_b32_e32 v8, v8, v21
	v_lshl_or_b32 v20, v14, 12, v10
	v_cndmask_b32_e64 v10, 0, 1, vcc
	v_lshlrev_b32_e32 v13, v13, v22
	v_cmp_ne_u32_e32 vcc, v8, v15
	v_lshl_or_b32 v3, v3, 9, v2
	v_lshl_or_b32 v10, v10, 9, v2
	v_cndmask_b32_e64 v8, 0, 1, vcc
	v_cmp_ne_u32_e32 vcc, v13, v18
	v_or_b32_e32 v8, v21, v8
	v_and_b32_sdwa v9, v9, s14 dst_sel:DWORD dst_unused:UNUSED_PAD src0_sel:WORD_1 src1_sel:DWORD
	v_cndmask_b32_e64 v13, 0, 1, vcc
	v_cmp_gt_i32_e32 vcc, 1, v12
	v_or_b32_e32 v13, v22, v13
	v_lshrrev_b32_e32 v11, 16, v11
	v_cndmask_b32_e32 v8, v17, v8, vcc
	v_cmp_gt_i32_e32 vcc, 1, v14
	v_and_b32_e32 v15, 7, v8
	v_cmp_eq_u32_e64 s[0:1], 3, v15
	v_cndmask_b32_e32 v13, v20, v13, vcc
	v_cmp_lt_i32_e32 vcc, 5, v15
	v_lshrrev_b32_e32 v8, 2, v8
	v_and_b32_e32 v17, 7, v13
	s_or_b64 vcc, s[0:1], vcc
	v_cmp_lt_i32_e64 s[2:3], 5, v17
	v_cmp_eq_u32_e64 s[4:5], 3, v17
	v_addc_co_u32_e32 v8, vcc, 0, v8, vcc
	v_lshrrev_b32_e32 v13, 2, v13
	s_or_b64 vcc, s[4:5], s[2:3]
	v_addc_co_u32_e32 v13, vcc, 0, v13, vcc
	v_cmp_gt_i32_e32 vcc, 31, v12
	v_lshl_add_u64 v[0:1], v[4:5], 2, v[0:1]
	v_lshl_add_u64 v[0:1], v[6:7], 2, v[0:1]
	v_cndmask_b32_e32 v8, v2, v8, vcc
	v_cmp_gt_i32_e32 vcc, 31, v14
	ds_read2_b32 v[4:5], v19 offset0:98 offset1:196
	s_waitcnt lgkmcnt(0)
	v_lshrrev_b32_e32 v7, 16, v4
	v_cndmask_b32_e32 v13, v2, v13, vcc
	v_cmp_eq_u32_e32 vcc, s10, v12
	s_nop 1
	v_cndmask_b32_e32 v3, v8, v3, vcc
	v_cmp_eq_u32_e32 vcc, s10, v14
	v_bitop3_b32 v3, v9, s17, v3 bitop3:0xc8
	s_nop 0
	v_cndmask_b32_e32 v8, v13, v10, vcc
	v_and_or_b32 v8, v11, s14, v8
	v_lshl_or_b32 v3, v8, 16, v3
	global_store_dword v[0:1], v3, off
	global_load_dword v6, v16, s[12:13] offset:392
	v_mov_b32_e32 v3, 0x188
	v_mad_u64_u32 v[0:1], s[0:1], s8, v3, v[0:1]
	v_add_u32_e32 v1, s9, v1
	s_waitcnt vmcnt(0)
	v_mul_f16_sdwa v8, v7, v6 dst_sel:DWORD dst_unused:UNUSED_PAD src0_sel:DWORD src1_sel:WORD_1
	v_mul_f16_sdwa v9, v4, v6 dst_sel:DWORD dst_unused:UNUSED_PAD src0_sel:DWORD src1_sel:WORD_1
	v_fma_f16 v4, v4, v6, v8
	v_fma_f16 v6, v6, v7, -v9
	v_cvt_f32_f16_e32 v4, v4
	v_cvt_f32_f16_e32 v8, v6
	v_cvt_f64_f32_e32 v[6:7], v4
	v_cvt_f64_f32_e32 v[8:9], v8
	v_mul_f64 v[6:7], v[6:7], s[6:7]
	v_mul_f64 v[8:9], v[8:9], s[6:7]
	v_and_or_b32 v4, v7, s16, v6
	v_and_or_b32 v8, v9, s16, v8
	v_cmp_ne_u32_e32 vcc, 0, v4
	v_lshrrev_b32_e32 v6, 8, v7
	v_bfe_u32 v10, v7, 20, 11
	v_cndmask_b32_e64 v4, 0, 1, vcc
	v_cmp_ne_u32_e32 vcc, 0, v8
	v_lshrrev_b32_e32 v11, 8, v9
	v_bfe_u32 v12, v9, 20, 11
	v_sub_u32_e32 v13, 0x3f1, v10
	v_cndmask_b32_e64 v8, 0, 1, vcc
	v_and_or_b32 v4, v6, s15, v4
	v_sub_u32_e32 v14, 0x3f1, v12
	v_med3_i32 v6, v13, 0, 13
	v_and_or_b32 v8, v11, s15, v8
	v_or_b32_e32 v13, 0x1000, v4
	v_add_u32_e32 v10, 0xfffffc10, v10
	v_med3_i32 v11, v14, 0, 13
	v_cmp_ne_u32_e32 vcc, 0, v4
	v_or_b32_e32 v15, 0x1000, v8
	v_lshrrev_b32_e32 v18, v6, v13
	v_add_u32_e32 v12, 0xfffffc10, v12
	v_lshl_or_b32 v14, v10, 12, v4
	v_cndmask_b32_e64 v4, 0, 1, vcc
	v_cmp_ne_u32_e32 vcc, 0, v8
	v_lshrrev_b32_e32 v20, v11, v15
	v_lshlrev_b32_e32 v6, v6, v18
	v_lshl_or_b32 v17, v12, 12, v8
	v_cndmask_b32_e64 v8, 0, 1, vcc
	v_lshlrev_b32_e32 v11, v11, v20
	v_cmp_ne_u32_e32 vcc, v6, v13
	v_lshl_or_b32 v4, v4, 9, v2
	v_lshl_or_b32 v8, v8, 9, v2
	v_cndmask_b32_e64 v6, 0, 1, vcc
	v_cmp_ne_u32_e32 vcc, v11, v15
	v_or_b32_e32 v6, v18, v6
	v_and_b32_sdwa v7, v7, s14 dst_sel:DWORD dst_unused:UNUSED_PAD src0_sel:WORD_1 src1_sel:DWORD
	v_cndmask_b32_e64 v11, 0, 1, vcc
	v_cmp_gt_i32_e32 vcc, 1, v10
	v_or_b32_e32 v11, v20, v11
	v_lshrrev_b32_e32 v9, 16, v9
	v_cndmask_b32_e32 v6, v14, v6, vcc
	v_cmp_gt_i32_e32 vcc, 1, v12
	v_and_b32_e32 v13, 7, v6
	v_cmp_eq_u32_e64 s[0:1], 3, v13
	v_cndmask_b32_e32 v11, v17, v11, vcc
	v_cmp_lt_i32_e32 vcc, 5, v13
	v_lshrrev_b32_e32 v6, 2, v6
	v_and_b32_e32 v14, 7, v11
	s_or_b64 vcc, s[0:1], vcc
	v_cmp_lt_i32_e64 s[2:3], 5, v14
	v_cmp_eq_u32_e64 s[4:5], 3, v14
	v_addc_co_u32_e32 v6, vcc, 0, v6, vcc
	v_lshrrev_b32_e32 v11, 2, v11
	s_or_b64 vcc, s[4:5], s[2:3]
	v_addc_co_u32_e32 v11, vcc, 0, v11, vcc
	v_cmp_gt_i32_e32 vcc, 31, v10
	s_nop 1
	v_cndmask_b32_e32 v6, v2, v6, vcc
	v_cmp_gt_i32_e32 vcc, 31, v12
	s_nop 1
	v_cndmask_b32_e32 v11, v2, v11, vcc
	v_cmp_eq_u32_e32 vcc, s10, v10
	s_nop 1
	v_cndmask_b32_e32 v4, v6, v4, vcc
	v_cmp_eq_u32_e32 vcc, s10, v12
	v_bitop3_b32 v4, v7, s17, v4 bitop3:0xc8
	s_nop 0
	v_cndmask_b32_e32 v6, v11, v8, vcc
	v_and_or_b32 v6, v9, s14, v6
	v_lshl_or_b32 v4, v6, 16, v4
	global_store_dword v[0:1], v4, off
	global_load_dword v4, v16, s[12:13] offset:784
	v_lshrrev_b32_e32 v6, 16, v5
	v_mad_u64_u32 v[0:1], s[0:1], s8, v3, v[0:1]
	v_add_u32_e32 v1, s9, v1
	s_waitcnt vmcnt(0)
	v_mul_f16_sdwa v7, v6, v4 dst_sel:DWORD dst_unused:UNUSED_PAD src0_sel:DWORD src1_sel:WORD_1
	v_mul_f16_sdwa v8, v5, v4 dst_sel:DWORD dst_unused:UNUSED_PAD src0_sel:DWORD src1_sel:WORD_1
	v_fma_f16 v5, v5, v4, v7
	v_fma_f16 v4, v4, v6, -v8
	v_cvt_f32_f16_e32 v5, v5
	v_cvt_f32_f16_e32 v6, v4
	v_cvt_f64_f32_e32 v[4:5], v5
	v_cvt_f64_f32_e32 v[6:7], v6
	v_mul_f64 v[4:5], v[4:5], s[6:7]
	v_mul_f64 v[6:7], v[6:7], s[6:7]
	v_and_or_b32 v4, v5, s16, v4
	v_and_or_b32 v6, v7, s16, v6
	v_cmp_ne_u32_e32 vcc, 0, v4
	v_lshrrev_b32_e32 v8, 8, v5
	v_bfe_u32 v9, v5, 20, 11
	v_cndmask_b32_e64 v4, 0, 1, vcc
	v_cmp_ne_u32_e32 vcc, 0, v6
	v_lshrrev_b32_e32 v10, 8, v7
	v_bfe_u32 v11, v7, 20, 11
	v_sub_u32_e32 v12, 0x3f1, v9
	v_cndmask_b32_e64 v6, 0, 1, vcc
	v_and_or_b32 v4, v8, s15, v4
	v_sub_u32_e32 v13, 0x3f1, v11
	v_med3_i32 v8, v12, 0, 13
	v_and_or_b32 v6, v10, s15, v6
	v_or_b32_e32 v12, 0x1000, v4
	v_add_u32_e32 v9, 0xfffffc10, v9
	v_med3_i32 v10, v13, 0, 13
	v_cmp_ne_u32_e32 vcc, 0, v4
	v_or_b32_e32 v14, 0x1000, v6
	v_lshrrev_b32_e32 v17, v8, v12
	v_add_u32_e32 v11, 0xfffffc10, v11
	v_lshl_or_b32 v13, v9, 12, v4
	v_cndmask_b32_e64 v4, 0, 1, vcc
	v_cmp_ne_u32_e32 vcc, 0, v6
	v_lshrrev_b32_e32 v18, v10, v14
	v_lshlrev_b32_e32 v8, v8, v17
	v_lshl_or_b32 v15, v11, 12, v6
	v_cndmask_b32_e64 v6, 0, 1, vcc
	v_lshlrev_b32_e32 v10, v10, v18
	v_cmp_ne_u32_e32 vcc, v8, v12
	v_lshl_or_b32 v4, v4, 9, v2
	v_lshl_or_b32 v6, v6, 9, v2
	v_cndmask_b32_e64 v8, 0, 1, vcc
	v_cmp_ne_u32_e32 vcc, v10, v14
	v_or_b32_e32 v8, v17, v8
	v_and_b32_sdwa v5, v5, s14 dst_sel:DWORD dst_unused:UNUSED_PAD src0_sel:WORD_1 src1_sel:DWORD
	v_cndmask_b32_e64 v10, 0, 1, vcc
	v_cmp_gt_i32_e32 vcc, 1, v9
	v_or_b32_e32 v10, v18, v10
	v_lshrrev_b32_e32 v7, 16, v7
	v_cndmask_b32_e32 v8, v13, v8, vcc
	v_cmp_gt_i32_e32 vcc, 1, v11
	v_and_b32_e32 v12, 7, v8
	v_cmp_eq_u32_e64 s[0:1], 3, v12
	v_cndmask_b32_e32 v10, v15, v10, vcc
	v_cmp_lt_i32_e32 vcc, 5, v12
	v_lshrrev_b32_e32 v8, 2, v8
	v_and_b32_e32 v13, 7, v10
	s_or_b64 vcc, s[0:1], vcc
	v_cmp_lt_i32_e64 s[2:3], 5, v13
	v_cmp_eq_u32_e64 s[4:5], 3, v13
	v_addc_co_u32_e32 v8, vcc, 0, v8, vcc
	v_lshrrev_b32_e32 v10, 2, v10
	s_or_b64 vcc, s[4:5], s[2:3]
	v_addc_co_u32_e32 v10, vcc, 0, v10, vcc
	v_cmp_gt_i32_e32 vcc, 31, v9
	s_nop 1
	v_cndmask_b32_e32 v8, v2, v8, vcc
	v_cmp_gt_i32_e32 vcc, 31, v11
	s_nop 1
	v_cndmask_b32_e32 v10, v2, v10, vcc
	v_cmp_eq_u32_e32 vcc, s10, v9
	s_nop 1
	v_cndmask_b32_e32 v4, v8, v4, vcc
	v_cmp_eq_u32_e32 vcc, s10, v11
	v_bitop3_b32 v4, v5, s17, v4 bitop3:0xc8
	s_nop 0
	v_cndmask_b32_e32 v6, v10, v6, vcc
	v_and_or_b32 v6, v7, s14, v6
	v_lshl_or_b32 v4, v6, 16, v4
	global_store_dword v[0:1], v4, off
	global_load_dword v6, v16, s[12:13] offset:1176
	v_add_u32_e32 v4, 0x400, v19
	ds_read2_b32 v[4:5], v4 offset0:38 offset1:136
	v_mad_u64_u32 v[0:1], s[0:1], s8, v3, v[0:1]
	v_add_u32_e32 v1, s9, v1
	s_waitcnt lgkmcnt(0)
	v_lshrrev_b32_e32 v7, 16, v4
	s_waitcnt vmcnt(0)
	v_mul_f16_sdwa v8, v7, v6 dst_sel:DWORD dst_unused:UNUSED_PAD src0_sel:DWORD src1_sel:WORD_1
	v_mul_f16_sdwa v9, v4, v6 dst_sel:DWORD dst_unused:UNUSED_PAD src0_sel:DWORD src1_sel:WORD_1
	v_fma_f16 v4, v4, v6, v8
	v_fma_f16 v6, v6, v7, -v9
	v_cvt_f32_f16_e32 v4, v4
	v_cvt_f32_f16_e32 v8, v6
	v_cvt_f64_f32_e32 v[6:7], v4
	v_cvt_f64_f32_e32 v[8:9], v8
	v_mul_f64 v[6:7], v[6:7], s[6:7]
	v_mul_f64 v[8:9], v[8:9], s[6:7]
	v_and_or_b32 v4, v7, s16, v6
	v_and_or_b32 v8, v9, s16, v8
	v_cmp_ne_u32_e32 vcc, 0, v4
	v_lshrrev_b32_e32 v6, 8, v7
	v_bfe_u32 v10, v7, 20, 11
	v_cndmask_b32_e64 v4, 0, 1, vcc
	v_cmp_ne_u32_e32 vcc, 0, v8
	v_lshrrev_b32_e32 v11, 8, v9
	v_bfe_u32 v12, v9, 20, 11
	v_sub_u32_e32 v13, 0x3f1, v10
	v_cndmask_b32_e64 v8, 0, 1, vcc
	v_and_or_b32 v4, v6, s15, v4
	v_sub_u32_e32 v14, 0x3f1, v12
	v_med3_i32 v6, v13, 0, 13
	v_and_or_b32 v8, v11, s15, v8
	v_or_b32_e32 v13, 0x1000, v4
	v_add_u32_e32 v10, 0xfffffc10, v10
	v_med3_i32 v11, v14, 0, 13
	v_cmp_ne_u32_e32 vcc, 0, v4
	v_or_b32_e32 v15, 0x1000, v8
	v_lshrrev_b32_e32 v18, v6, v13
	v_add_u32_e32 v12, 0xfffffc10, v12
	v_lshl_or_b32 v14, v10, 12, v4
	v_cndmask_b32_e64 v4, 0, 1, vcc
	v_cmp_ne_u32_e32 vcc, 0, v8
	v_lshrrev_b32_e32 v20, v11, v15
	v_lshlrev_b32_e32 v6, v6, v18
	v_lshl_or_b32 v17, v12, 12, v8
	v_cndmask_b32_e64 v8, 0, 1, vcc
	v_lshlrev_b32_e32 v11, v11, v20
	v_cmp_ne_u32_e32 vcc, v6, v13
	v_lshl_or_b32 v4, v4, 9, v2
	v_lshl_or_b32 v8, v8, 9, v2
	v_cndmask_b32_e64 v6, 0, 1, vcc
	v_cmp_ne_u32_e32 vcc, v11, v15
	v_or_b32_e32 v6, v18, v6
	v_and_b32_sdwa v7, v7, s14 dst_sel:DWORD dst_unused:UNUSED_PAD src0_sel:WORD_1 src1_sel:DWORD
	v_cndmask_b32_e64 v11, 0, 1, vcc
	v_cmp_gt_i32_e32 vcc, 1, v10
	v_or_b32_e32 v11, v20, v11
	v_lshrrev_b32_e32 v9, 16, v9
	v_cndmask_b32_e32 v6, v14, v6, vcc
	v_cmp_gt_i32_e32 vcc, 1, v12
	v_and_b32_e32 v13, 7, v6
	v_cmp_eq_u32_e64 s[0:1], 3, v13
	v_cndmask_b32_e32 v11, v17, v11, vcc
	v_cmp_lt_i32_e32 vcc, 5, v13
	v_lshrrev_b32_e32 v6, 2, v6
	v_and_b32_e32 v14, 7, v11
	s_or_b64 vcc, s[0:1], vcc
	v_cmp_lt_i32_e64 s[2:3], 5, v14
	v_cmp_eq_u32_e64 s[4:5], 3, v14
	v_addc_co_u32_e32 v6, vcc, 0, v6, vcc
	v_lshrrev_b32_e32 v11, 2, v11
	s_or_b64 vcc, s[4:5], s[2:3]
	v_addc_co_u32_e32 v11, vcc, 0, v11, vcc
	v_cmp_gt_i32_e32 vcc, 31, v10
	s_nop 1
	v_cndmask_b32_e32 v6, v2, v6, vcc
	v_cmp_gt_i32_e32 vcc, 31, v12
	s_nop 1
	v_cndmask_b32_e32 v11, v2, v11, vcc
	v_cmp_eq_u32_e32 vcc, s10, v10
	s_nop 1
	v_cndmask_b32_e32 v4, v6, v4, vcc
	v_cmp_eq_u32_e32 vcc, s10, v12
	v_bitop3_b32 v4, v7, s17, v4 bitop3:0xc8
	s_nop 0
	v_cndmask_b32_e32 v6, v11, v8, vcc
	v_and_or_b32 v6, v9, s14, v6
	v_lshl_or_b32 v4, v6, 16, v4
	global_store_dword v[0:1], v4, off
	global_load_dword v4, v16, s[12:13] offset:1568
	v_lshrrev_b32_e32 v6, 16, v5
	v_mad_u64_u32 v[0:1], s[0:1], s8, v3, v[0:1]
	v_add_u32_e32 v1, s9, v1
	s_waitcnt vmcnt(0)
	v_mul_f16_sdwa v7, v6, v4 dst_sel:DWORD dst_unused:UNUSED_PAD src0_sel:DWORD src1_sel:WORD_1
	v_mul_f16_sdwa v8, v5, v4 dst_sel:DWORD dst_unused:UNUSED_PAD src0_sel:DWORD src1_sel:WORD_1
	v_fma_f16 v5, v5, v4, v7
	v_fma_f16 v4, v4, v6, -v8
	v_cvt_f32_f16_e32 v5, v5
	v_cvt_f32_f16_e32 v6, v4
	v_cvt_f64_f32_e32 v[4:5], v5
	v_cvt_f64_f32_e32 v[6:7], v6
	v_mul_f64 v[4:5], v[4:5], s[6:7]
	v_mul_f64 v[6:7], v[6:7], s[6:7]
	v_and_or_b32 v4, v5, s16, v4
	v_and_or_b32 v6, v7, s16, v6
	v_cmp_ne_u32_e32 vcc, 0, v4
	v_lshrrev_b32_e32 v8, 8, v5
	v_bfe_u32 v9, v5, 20, 11
	v_cndmask_b32_e64 v4, 0, 1, vcc
	v_cmp_ne_u32_e32 vcc, 0, v6
	v_lshrrev_b32_e32 v10, 8, v7
	v_bfe_u32 v11, v7, 20, 11
	v_sub_u32_e32 v12, 0x3f1, v9
	v_cndmask_b32_e64 v6, 0, 1, vcc
	v_and_or_b32 v4, v8, s15, v4
	v_sub_u32_e32 v13, 0x3f1, v11
	v_med3_i32 v8, v12, 0, 13
	v_and_or_b32 v6, v10, s15, v6
	v_or_b32_e32 v12, 0x1000, v4
	v_add_u32_e32 v9, 0xfffffc10, v9
	v_med3_i32 v10, v13, 0, 13
	v_cmp_ne_u32_e32 vcc, 0, v4
	v_or_b32_e32 v14, 0x1000, v6
	v_lshrrev_b32_e32 v17, v8, v12
	v_add_u32_e32 v11, 0xfffffc10, v11
	v_lshl_or_b32 v13, v9, 12, v4
	v_cndmask_b32_e64 v4, 0, 1, vcc
	v_cmp_ne_u32_e32 vcc, 0, v6
	v_lshrrev_b32_e32 v18, v10, v14
	v_lshlrev_b32_e32 v8, v8, v17
	v_lshl_or_b32 v15, v11, 12, v6
	v_cndmask_b32_e64 v6, 0, 1, vcc
	v_lshlrev_b32_e32 v10, v10, v18
	v_cmp_ne_u32_e32 vcc, v8, v12
	v_lshl_or_b32 v4, v4, 9, v2
	v_lshl_or_b32 v6, v6, 9, v2
	v_cndmask_b32_e64 v8, 0, 1, vcc
	v_cmp_ne_u32_e32 vcc, v10, v14
	v_or_b32_e32 v8, v17, v8
	v_and_b32_sdwa v5, v5, s14 dst_sel:DWORD dst_unused:UNUSED_PAD src0_sel:WORD_1 src1_sel:DWORD
	v_cndmask_b32_e64 v10, 0, 1, vcc
	v_cmp_gt_i32_e32 vcc, 1, v9
	v_or_b32_e32 v10, v18, v10
	v_lshrrev_b32_e32 v7, 16, v7
	v_cndmask_b32_e32 v8, v13, v8, vcc
	v_cmp_gt_i32_e32 vcc, 1, v11
	v_and_b32_e32 v12, 7, v8
	v_cmp_eq_u32_e64 s[0:1], 3, v12
	v_cndmask_b32_e32 v10, v15, v10, vcc
	v_cmp_lt_i32_e32 vcc, 5, v12
	v_lshrrev_b32_e32 v8, 2, v8
	v_and_b32_e32 v13, 7, v10
	s_or_b64 vcc, s[0:1], vcc
	v_cmp_lt_i32_e64 s[2:3], 5, v13
	v_cmp_eq_u32_e64 s[4:5], 3, v13
	v_addc_co_u32_e32 v8, vcc, 0, v8, vcc
	v_lshrrev_b32_e32 v10, 2, v10
	s_or_b64 vcc, s[4:5], s[2:3]
	v_addc_co_u32_e32 v10, vcc, 0, v10, vcc
	v_cmp_gt_i32_e32 vcc, 31, v9
	s_nop 1
	v_cndmask_b32_e32 v8, v2, v8, vcc
	v_cmp_gt_i32_e32 vcc, 31, v11
	s_nop 1
	v_cndmask_b32_e32 v10, v2, v10, vcc
	v_cmp_eq_u32_e32 vcc, s10, v9
	s_nop 1
	v_cndmask_b32_e32 v4, v8, v4, vcc
	v_cmp_eq_u32_e32 vcc, s10, v11
	v_bitop3_b32 v4, v5, s17, v4 bitop3:0xc8
	s_nop 0
	v_cndmask_b32_e32 v6, v10, v6, vcc
	v_and_or_b32 v6, v7, s14, v6
	v_lshl_or_b32 v4, v6, 16, v4
	global_store_dword v[0:1], v4, off
	global_load_dword v6, v16, s[12:13] offset:1960
	v_add_u32_e32 v4, 0x600, v19
	ds_read2_b32 v[4:5], v4 offset0:106 offset1:204
	v_mad_u64_u32 v[0:1], s[0:1], s8, v3, v[0:1]
	v_add_u32_e32 v1, s9, v1
	s_waitcnt lgkmcnt(0)
	v_lshrrev_b32_e32 v7, 16, v4
	s_waitcnt vmcnt(0)
	v_mul_f16_sdwa v8, v7, v6 dst_sel:DWORD dst_unused:UNUSED_PAD src0_sel:DWORD src1_sel:WORD_1
	v_mul_f16_sdwa v9, v4, v6 dst_sel:DWORD dst_unused:UNUSED_PAD src0_sel:DWORD src1_sel:WORD_1
	v_fma_f16 v4, v4, v6, v8
	v_fma_f16 v6, v6, v7, -v9
	v_cvt_f32_f16_e32 v4, v4
	v_cvt_f32_f16_e32 v8, v6
	v_cvt_f64_f32_e32 v[6:7], v4
	v_cvt_f64_f32_e32 v[8:9], v8
	v_mul_f64 v[6:7], v[6:7], s[6:7]
	v_mul_f64 v[8:9], v[8:9], s[6:7]
	v_and_or_b32 v4, v7, s16, v6
	v_and_or_b32 v8, v9, s16, v8
	v_cmp_ne_u32_e32 vcc, 0, v4
	v_lshrrev_b32_e32 v6, 8, v7
	v_bfe_u32 v10, v7, 20, 11
	v_cndmask_b32_e64 v4, 0, 1, vcc
	v_cmp_ne_u32_e32 vcc, 0, v8
	v_lshrrev_b32_e32 v11, 8, v9
	v_bfe_u32 v12, v9, 20, 11
	v_sub_u32_e32 v13, 0x3f1, v10
	v_cndmask_b32_e64 v8, 0, 1, vcc
	v_and_or_b32 v4, v6, s15, v4
	v_sub_u32_e32 v14, 0x3f1, v12
	v_med3_i32 v6, v13, 0, 13
	v_and_or_b32 v8, v11, s15, v8
	v_or_b32_e32 v13, 0x1000, v4
	v_add_u32_e32 v10, 0xfffffc10, v10
	v_med3_i32 v11, v14, 0, 13
	v_cmp_ne_u32_e32 vcc, 0, v4
	v_or_b32_e32 v15, 0x1000, v8
	v_lshrrev_b32_e32 v18, v6, v13
	v_add_u32_e32 v12, 0xfffffc10, v12
	v_lshl_or_b32 v14, v10, 12, v4
	v_cndmask_b32_e64 v4, 0, 1, vcc
	v_cmp_ne_u32_e32 vcc, 0, v8
	v_lshrrev_b32_e32 v20, v11, v15
	v_lshlrev_b32_e32 v6, v6, v18
	v_lshl_or_b32 v17, v12, 12, v8
	v_cndmask_b32_e64 v8, 0, 1, vcc
	v_lshlrev_b32_e32 v11, v11, v20
	v_cmp_ne_u32_e32 vcc, v6, v13
	v_lshl_or_b32 v4, v4, 9, v2
	v_lshl_or_b32 v8, v8, 9, v2
	v_cndmask_b32_e64 v6, 0, 1, vcc
	v_cmp_ne_u32_e32 vcc, v11, v15
	v_or_b32_e32 v6, v18, v6
	v_and_b32_sdwa v7, v7, s14 dst_sel:DWORD dst_unused:UNUSED_PAD src0_sel:WORD_1 src1_sel:DWORD
	v_cndmask_b32_e64 v11, 0, 1, vcc
	v_cmp_gt_i32_e32 vcc, 1, v10
	v_or_b32_e32 v11, v20, v11
	v_lshrrev_b32_e32 v9, 16, v9
	v_cndmask_b32_e32 v6, v14, v6, vcc
	v_cmp_gt_i32_e32 vcc, 1, v12
	v_and_b32_e32 v13, 7, v6
	v_cmp_eq_u32_e64 s[0:1], 3, v13
	v_cndmask_b32_e32 v11, v17, v11, vcc
	v_cmp_lt_i32_e32 vcc, 5, v13
	v_lshrrev_b32_e32 v6, 2, v6
	v_and_b32_e32 v14, 7, v11
	s_or_b64 vcc, s[0:1], vcc
	v_cmp_lt_i32_e64 s[2:3], 5, v14
	v_cmp_eq_u32_e64 s[4:5], 3, v14
	v_addc_co_u32_e32 v6, vcc, 0, v6, vcc
	v_lshrrev_b32_e32 v11, 2, v11
	s_or_b64 vcc, s[4:5], s[2:3]
	v_addc_co_u32_e32 v11, vcc, 0, v11, vcc
	v_cmp_gt_i32_e32 vcc, 31, v10
	s_nop 1
	v_cndmask_b32_e32 v6, v2, v6, vcc
	v_cmp_gt_i32_e32 vcc, 31, v12
	s_nop 1
	v_cndmask_b32_e32 v11, v2, v11, vcc
	v_cmp_eq_u32_e32 vcc, s10, v10
	s_nop 1
	v_cndmask_b32_e32 v4, v6, v4, vcc
	v_cmp_eq_u32_e32 vcc, s10, v12
	v_bitop3_b32 v4, v7, s17, v4 bitop3:0xc8
	s_nop 0
	v_cndmask_b32_e32 v6, v11, v8, vcc
	v_and_or_b32 v6, v9, s14, v6
	v_lshl_or_b32 v4, v6, 16, v4
	global_store_dword v[0:1], v4, off
	global_load_dword v4, v16, s[12:13] offset:2352
	v_lshrrev_b32_e32 v6, 16, v5
	v_mad_u64_u32 v[0:1], s[0:1], s8, v3, v[0:1]
	v_add_u32_e32 v1, s9, v1
	s_waitcnt vmcnt(0)
	v_mul_f16_sdwa v7, v6, v4 dst_sel:DWORD dst_unused:UNUSED_PAD src0_sel:DWORD src1_sel:WORD_1
	v_mul_f16_sdwa v8, v5, v4 dst_sel:DWORD dst_unused:UNUSED_PAD src0_sel:DWORD src1_sel:WORD_1
	v_fma_f16 v5, v5, v4, v7
	v_fma_f16 v4, v4, v6, -v8
	v_cvt_f32_f16_e32 v5, v5
	v_cvt_f32_f16_e32 v6, v4
	v_cvt_f64_f32_e32 v[4:5], v5
	v_cvt_f64_f32_e32 v[6:7], v6
	v_mul_f64 v[4:5], v[4:5], s[6:7]
	v_mul_f64 v[6:7], v[6:7], s[6:7]
	v_and_or_b32 v4, v5, s16, v4
	v_and_or_b32 v6, v7, s16, v6
	v_cmp_ne_u32_e32 vcc, 0, v4
	v_lshrrev_b32_e32 v8, 8, v5
	v_bfe_u32 v9, v5, 20, 11
	v_cndmask_b32_e64 v4, 0, 1, vcc
	v_cmp_ne_u32_e32 vcc, 0, v6
	v_lshrrev_b32_e32 v10, 8, v7
	v_bfe_u32 v11, v7, 20, 11
	v_sub_u32_e32 v12, 0x3f1, v9
	v_cndmask_b32_e64 v6, 0, 1, vcc
	v_and_or_b32 v4, v8, s15, v4
	v_sub_u32_e32 v13, 0x3f1, v11
	v_med3_i32 v8, v12, 0, 13
	v_and_or_b32 v6, v10, s15, v6
	v_or_b32_e32 v12, 0x1000, v4
	v_add_u32_e32 v9, 0xfffffc10, v9
	v_med3_i32 v10, v13, 0, 13
	v_cmp_ne_u32_e32 vcc, 0, v4
	v_or_b32_e32 v14, 0x1000, v6
	v_lshrrev_b32_e32 v17, v8, v12
	v_add_u32_e32 v11, 0xfffffc10, v11
	v_lshl_or_b32 v13, v9, 12, v4
	v_cndmask_b32_e64 v4, 0, 1, vcc
	v_cmp_ne_u32_e32 vcc, 0, v6
	v_lshrrev_b32_e32 v18, v10, v14
	v_lshlrev_b32_e32 v8, v8, v17
	v_lshl_or_b32 v15, v11, 12, v6
	v_cndmask_b32_e64 v6, 0, 1, vcc
	v_lshlrev_b32_e32 v10, v10, v18
	v_cmp_ne_u32_e32 vcc, v8, v12
	v_lshl_or_b32 v4, v4, 9, v2
	v_lshl_or_b32 v6, v6, 9, v2
	v_cndmask_b32_e64 v8, 0, 1, vcc
	v_cmp_ne_u32_e32 vcc, v10, v14
	v_or_b32_e32 v8, v17, v8
	v_and_b32_sdwa v5, v5, s14 dst_sel:DWORD dst_unused:UNUSED_PAD src0_sel:WORD_1 src1_sel:DWORD
	v_cndmask_b32_e64 v10, 0, 1, vcc
	v_cmp_gt_i32_e32 vcc, 1, v9
	v_or_b32_e32 v10, v18, v10
	v_lshrrev_b32_e32 v7, 16, v7
	v_cndmask_b32_e32 v8, v13, v8, vcc
	v_cmp_gt_i32_e32 vcc, 1, v11
	v_and_b32_e32 v12, 7, v8
	v_cmp_eq_u32_e64 s[0:1], 3, v12
	v_cndmask_b32_e32 v10, v15, v10, vcc
	v_cmp_lt_i32_e32 vcc, 5, v12
	v_lshrrev_b32_e32 v8, 2, v8
	v_and_b32_e32 v13, 7, v10
	s_or_b64 vcc, s[0:1], vcc
	v_cmp_lt_i32_e64 s[2:3], 5, v13
	v_cmp_eq_u32_e64 s[4:5], 3, v13
	v_addc_co_u32_e32 v8, vcc, 0, v8, vcc
	v_lshrrev_b32_e32 v10, 2, v10
	s_or_b64 vcc, s[4:5], s[2:3]
	v_addc_co_u32_e32 v10, vcc, 0, v10, vcc
	v_cmp_gt_i32_e32 vcc, 31, v9
	s_nop 1
	v_cndmask_b32_e32 v8, v2, v8, vcc
	v_cmp_gt_i32_e32 vcc, 31, v11
	s_nop 1
	v_cndmask_b32_e32 v10, v2, v10, vcc
	v_cmp_eq_u32_e32 vcc, s10, v9
	s_nop 1
	v_cndmask_b32_e32 v4, v8, v4, vcc
	v_cmp_eq_u32_e32 vcc, s10, v11
	v_bitop3_b32 v4, v5, s17, v4 bitop3:0xc8
	s_nop 0
	v_cndmask_b32_e32 v6, v10, v6, vcc
	v_and_or_b32 v6, v7, s14, v6
	v_lshl_or_b32 v4, v6, 16, v4
	global_store_dword v[0:1], v4, off
	global_load_dword v6, v16, s[12:13] offset:2744
	v_add_u32_e32 v4, 0xa00, v19
	ds_read2_b32 v[4:5], v4 offset0:46 offset1:144
	v_mad_u64_u32 v[0:1], s[0:1], s8, v3, v[0:1]
	v_add_u32_e32 v1, s9, v1
	s_waitcnt lgkmcnt(0)
	v_lshrrev_b32_e32 v7, 16, v4
	s_waitcnt vmcnt(0)
	v_mul_f16_sdwa v8, v7, v6 dst_sel:DWORD dst_unused:UNUSED_PAD src0_sel:DWORD src1_sel:WORD_1
	v_mul_f16_sdwa v9, v4, v6 dst_sel:DWORD dst_unused:UNUSED_PAD src0_sel:DWORD src1_sel:WORD_1
	v_fma_f16 v4, v4, v6, v8
	v_fma_f16 v6, v6, v7, -v9
	v_cvt_f32_f16_e32 v4, v4
	v_cvt_f32_f16_e32 v8, v6
	v_cvt_f64_f32_e32 v[6:7], v4
	v_cvt_f64_f32_e32 v[8:9], v8
	v_mul_f64 v[6:7], v[6:7], s[6:7]
	v_mul_f64 v[8:9], v[8:9], s[6:7]
	v_and_or_b32 v4, v7, s16, v6
	v_and_or_b32 v8, v9, s16, v8
	v_cmp_ne_u32_e32 vcc, 0, v4
	v_lshrrev_b32_e32 v6, 8, v7
	v_bfe_u32 v10, v7, 20, 11
	v_cndmask_b32_e64 v4, 0, 1, vcc
	v_cmp_ne_u32_e32 vcc, 0, v8
	v_lshrrev_b32_e32 v11, 8, v9
	v_bfe_u32 v12, v9, 20, 11
	v_sub_u32_e32 v13, 0x3f1, v10
	v_cndmask_b32_e64 v8, 0, 1, vcc
	v_and_or_b32 v4, v6, s15, v4
	v_sub_u32_e32 v14, 0x3f1, v12
	v_med3_i32 v6, v13, 0, 13
	v_and_or_b32 v8, v11, s15, v8
	v_or_b32_e32 v13, 0x1000, v4
	v_add_u32_e32 v10, 0xfffffc10, v10
	v_med3_i32 v11, v14, 0, 13
	v_cmp_ne_u32_e32 vcc, 0, v4
	v_or_b32_e32 v15, 0x1000, v8
	v_lshrrev_b32_e32 v18, v6, v13
	v_add_u32_e32 v12, 0xfffffc10, v12
	v_lshl_or_b32 v14, v10, 12, v4
	v_cndmask_b32_e64 v4, 0, 1, vcc
	v_cmp_ne_u32_e32 vcc, 0, v8
	v_lshrrev_b32_e32 v20, v11, v15
	v_lshlrev_b32_e32 v6, v6, v18
	v_lshl_or_b32 v17, v12, 12, v8
	v_cndmask_b32_e64 v8, 0, 1, vcc
	v_lshlrev_b32_e32 v11, v11, v20
	v_cmp_ne_u32_e32 vcc, v6, v13
	v_lshl_or_b32 v4, v4, 9, v2
	v_lshl_or_b32 v8, v8, 9, v2
	v_cndmask_b32_e64 v6, 0, 1, vcc
	v_cmp_ne_u32_e32 vcc, v11, v15
	v_or_b32_e32 v6, v18, v6
	v_and_b32_sdwa v7, v7, s14 dst_sel:DWORD dst_unused:UNUSED_PAD src0_sel:WORD_1 src1_sel:DWORD
	v_cndmask_b32_e64 v11, 0, 1, vcc
	v_cmp_gt_i32_e32 vcc, 1, v10
	v_or_b32_e32 v11, v20, v11
	v_lshrrev_b32_e32 v9, 16, v9
	v_cndmask_b32_e32 v6, v14, v6, vcc
	v_cmp_gt_i32_e32 vcc, 1, v12
	v_and_b32_e32 v13, 7, v6
	v_cmp_eq_u32_e64 s[0:1], 3, v13
	v_cndmask_b32_e32 v11, v17, v11, vcc
	v_cmp_lt_i32_e32 vcc, 5, v13
	v_lshrrev_b32_e32 v6, 2, v6
	v_and_b32_e32 v14, 7, v11
	s_or_b64 vcc, s[0:1], vcc
	v_cmp_lt_i32_e64 s[2:3], 5, v14
	v_cmp_eq_u32_e64 s[4:5], 3, v14
	v_addc_co_u32_e32 v6, vcc, 0, v6, vcc
	v_lshrrev_b32_e32 v11, 2, v11
	s_or_b64 vcc, s[4:5], s[2:3]
	v_addc_co_u32_e32 v11, vcc, 0, v11, vcc
	v_cmp_gt_i32_e32 vcc, 31, v10
	s_nop 1
	v_cndmask_b32_e32 v6, v2, v6, vcc
	v_cmp_gt_i32_e32 vcc, 31, v12
	s_nop 1
	v_cndmask_b32_e32 v11, v2, v11, vcc
	v_cmp_eq_u32_e32 vcc, s10, v10
	s_nop 1
	v_cndmask_b32_e32 v4, v6, v4, vcc
	v_cmp_eq_u32_e32 vcc, s10, v12
	v_bitop3_b32 v4, v7, s17, v4 bitop3:0xc8
	s_nop 0
	v_cndmask_b32_e32 v6, v11, v8, vcc
	v_and_or_b32 v6, v9, s14, v6
	v_lshl_or_b32 v4, v6, 16, v4
	global_store_dword v[0:1], v4, off
	global_load_dword v4, v16, s[12:13] offset:3136
	v_lshrrev_b32_e32 v6, 16, v5
	v_mad_u64_u32 v[0:1], s[0:1], s8, v3, v[0:1]
	v_add_u32_e32 v1, s9, v1
	s_waitcnt vmcnt(0)
	v_mul_f16_sdwa v7, v6, v4 dst_sel:DWORD dst_unused:UNUSED_PAD src0_sel:DWORD src1_sel:WORD_1
	v_mul_f16_sdwa v8, v5, v4 dst_sel:DWORD dst_unused:UNUSED_PAD src0_sel:DWORD src1_sel:WORD_1
	v_fma_f16 v5, v5, v4, v7
	v_fma_f16 v4, v4, v6, -v8
	v_cvt_f32_f16_e32 v5, v5
	v_cvt_f32_f16_e32 v6, v4
	v_cvt_f64_f32_e32 v[4:5], v5
	v_cvt_f64_f32_e32 v[6:7], v6
	v_mul_f64 v[4:5], v[4:5], s[6:7]
	v_mul_f64 v[6:7], v[6:7], s[6:7]
	v_and_or_b32 v4, v5, s16, v4
	v_and_or_b32 v6, v7, s16, v6
	v_cmp_ne_u32_e32 vcc, 0, v4
	v_lshrrev_b32_e32 v8, 8, v5
	v_bfe_u32 v9, v5, 20, 11
	v_cndmask_b32_e64 v4, 0, 1, vcc
	v_cmp_ne_u32_e32 vcc, 0, v6
	v_lshrrev_b32_e32 v10, 8, v7
	v_bfe_u32 v11, v7, 20, 11
	v_sub_u32_e32 v12, 0x3f1, v9
	v_cndmask_b32_e64 v6, 0, 1, vcc
	v_and_or_b32 v4, v8, s15, v4
	v_sub_u32_e32 v13, 0x3f1, v11
	v_med3_i32 v8, v12, 0, 13
	v_and_or_b32 v6, v10, s15, v6
	v_or_b32_e32 v12, 0x1000, v4
	v_add_u32_e32 v9, 0xfffffc10, v9
	v_med3_i32 v10, v13, 0, 13
	v_cmp_ne_u32_e32 vcc, 0, v4
	v_or_b32_e32 v14, 0x1000, v6
	v_lshrrev_b32_e32 v17, v8, v12
	v_add_u32_e32 v11, 0xfffffc10, v11
	v_lshl_or_b32 v13, v9, 12, v4
	v_cndmask_b32_e64 v4, 0, 1, vcc
	v_cmp_ne_u32_e32 vcc, 0, v6
	v_lshrrev_b32_e32 v18, v10, v14
	v_lshlrev_b32_e32 v8, v8, v17
	v_lshl_or_b32 v15, v11, 12, v6
	v_cndmask_b32_e64 v6, 0, 1, vcc
	v_lshlrev_b32_e32 v10, v10, v18
	v_cmp_ne_u32_e32 vcc, v8, v12
	v_lshl_or_b32 v4, v4, 9, v2
	v_lshl_or_b32 v6, v6, 9, v2
	v_cndmask_b32_e64 v8, 0, 1, vcc
	v_cmp_ne_u32_e32 vcc, v10, v14
	v_or_b32_e32 v8, v17, v8
	v_and_b32_sdwa v5, v5, s14 dst_sel:DWORD dst_unused:UNUSED_PAD src0_sel:WORD_1 src1_sel:DWORD
	v_cndmask_b32_e64 v10, 0, 1, vcc
	v_cmp_gt_i32_e32 vcc, 1, v9
	v_or_b32_e32 v10, v18, v10
	v_lshrrev_b32_e32 v7, 16, v7
	v_cndmask_b32_e32 v8, v13, v8, vcc
	v_cmp_gt_i32_e32 vcc, 1, v11
	v_and_b32_e32 v12, 7, v8
	v_cmp_eq_u32_e64 s[0:1], 3, v12
	v_cndmask_b32_e32 v10, v15, v10, vcc
	v_cmp_lt_i32_e32 vcc, 5, v12
	v_lshrrev_b32_e32 v8, 2, v8
	v_and_b32_e32 v13, 7, v10
	s_or_b64 vcc, s[0:1], vcc
	v_cmp_lt_i32_e64 s[2:3], 5, v13
	v_cmp_eq_u32_e64 s[4:5], 3, v13
	v_addc_co_u32_e32 v8, vcc, 0, v8, vcc
	v_lshrrev_b32_e32 v10, 2, v10
	s_or_b64 vcc, s[4:5], s[2:3]
	v_addc_co_u32_e32 v10, vcc, 0, v10, vcc
	v_cmp_gt_i32_e32 vcc, 31, v9
	s_nop 1
	v_cndmask_b32_e32 v8, v2, v8, vcc
	v_cmp_gt_i32_e32 vcc, 31, v11
	s_nop 1
	v_cndmask_b32_e32 v10, v2, v10, vcc
	v_cmp_eq_u32_e32 vcc, s10, v9
	s_nop 1
	v_cndmask_b32_e32 v4, v8, v4, vcc
	v_cmp_eq_u32_e32 vcc, s10, v11
	v_bitop3_b32 v4, v5, s17, v4 bitop3:0xc8
	s_nop 0
	v_cndmask_b32_e32 v6, v10, v6, vcc
	v_and_or_b32 v6, v7, s14, v6
	v_lshl_or_b32 v4, v6, 16, v4
	global_store_dword v[0:1], v4, off
	global_load_dword v6, v16, s[12:13] offset:3528
	v_add_u32_e32 v4, 0xc00, v19
	ds_read2_b32 v[4:5], v4 offset0:114 offset1:212
	s_waitcnt lgkmcnt(0)
	v_lshrrev_b32_e32 v7, 16, v4
	s_waitcnt vmcnt(0)
	v_mul_f16_sdwa v8, v7, v6 dst_sel:DWORD dst_unused:UNUSED_PAD src0_sel:DWORD src1_sel:WORD_1
	v_mul_f16_sdwa v9, v4, v6 dst_sel:DWORD dst_unused:UNUSED_PAD src0_sel:DWORD src1_sel:WORD_1
	v_fma_f16 v4, v4, v6, v8
	v_fma_f16 v6, v6, v7, -v9
	v_cvt_f32_f16_e32 v4, v4
	v_cvt_f32_f16_e32 v8, v6
	v_mad_u64_u32 v[6:7], s[0:1], s8, v3, v[0:1]
	v_cvt_f64_f32_e32 v[0:1], v4
	v_cvt_f64_f32_e32 v[8:9], v8
	v_mul_f64 v[0:1], v[0:1], s[6:7]
	v_mul_f64 v[8:9], v[8:9], s[6:7]
	v_and_or_b32 v0, v1, s16, v0
	v_and_or_b32 v8, v9, s16, v8
	v_cmp_ne_u32_e32 vcc, 0, v0
	v_lshrrev_b32_e32 v4, 8, v1
	v_bfe_u32 v10, v1, 20, 11
	v_cndmask_b32_e64 v0, 0, 1, vcc
	v_cmp_ne_u32_e32 vcc, 0, v8
	v_lshrrev_b32_e32 v11, 8, v9
	v_bfe_u32 v12, v9, 20, 11
	v_sub_u32_e32 v13, 0x3f1, v10
	v_cndmask_b32_e64 v8, 0, 1, vcc
	v_and_or_b32 v0, v4, s15, v0
	v_sub_u32_e32 v14, 0x3f1, v12
	v_med3_i32 v4, v13, 0, 13
	v_and_or_b32 v8, v11, s15, v8
	v_or_b32_e32 v13, 0x1000, v0
	v_add_u32_e32 v10, 0xfffffc10, v10
	v_med3_i32 v11, v14, 0, 13
	v_cmp_ne_u32_e32 vcc, 0, v0
	v_or_b32_e32 v15, 0x1000, v8
	v_lshrrev_b32_e32 v18, v4, v13
	v_add_u32_e32 v12, 0xfffffc10, v12
	v_lshl_or_b32 v14, v10, 12, v0
	v_cndmask_b32_e64 v0, 0, 1, vcc
	v_cmp_ne_u32_e32 vcc, 0, v8
	v_lshrrev_b32_e32 v20, v11, v15
	v_lshlrev_b32_e32 v4, v4, v18
	v_lshl_or_b32 v17, v12, 12, v8
	v_cndmask_b32_e64 v8, 0, 1, vcc
	v_lshlrev_b32_e32 v11, v11, v20
	v_cmp_ne_u32_e32 vcc, v4, v13
	v_lshl_or_b32 v0, v0, 9, v2
	v_lshl_or_b32 v8, v8, 9, v2
	v_cndmask_b32_e64 v4, 0, 1, vcc
	v_cmp_ne_u32_e32 vcc, v11, v15
	v_or_b32_e32 v4, v18, v4
	v_and_b32_sdwa v1, v1, s14 dst_sel:DWORD dst_unused:UNUSED_PAD src0_sel:WORD_1 src1_sel:DWORD
	v_cndmask_b32_e64 v11, 0, 1, vcc
	v_cmp_gt_i32_e32 vcc, 1, v10
	v_or_b32_e32 v11, v20, v11
	v_lshrrev_b32_e32 v9, 16, v9
	v_cndmask_b32_e32 v4, v14, v4, vcc
	v_cmp_gt_i32_e32 vcc, 1, v12
	v_and_b32_e32 v13, 7, v4
	v_cmp_eq_u32_e64 s[0:1], 3, v13
	v_cndmask_b32_e32 v11, v17, v11, vcc
	v_cmp_lt_i32_e32 vcc, 5, v13
	v_lshrrev_b32_e32 v4, 2, v4
	v_and_b32_e32 v14, 7, v11
	s_or_b64 vcc, s[0:1], vcc
	v_cmp_lt_i32_e64 s[2:3], 5, v14
	v_cmp_eq_u32_e64 s[4:5], 3, v14
	v_addc_co_u32_e32 v4, vcc, 0, v4, vcc
	v_lshrrev_b32_e32 v11, 2, v11
	s_or_b64 vcc, s[4:5], s[2:3]
	v_addc_co_u32_e32 v11, vcc, 0, v11, vcc
	v_cmp_gt_i32_e32 vcc, 31, v10
	v_add_u32_e32 v7, s9, v7
	v_mov_b32_e32 v17, 0
	v_cndmask_b32_e32 v4, v2, v4, vcc
	v_cmp_gt_i32_e32 vcc, 31, v12
	s_movk_i32 s0, 0x1000
	s_nop 0
	v_cndmask_b32_e32 v11, v2, v11, vcc
	v_cmp_eq_u32_e32 vcc, s10, v10
	s_nop 1
	v_cndmask_b32_e32 v0, v4, v0, vcc
	v_cmp_eq_u32_e32 vcc, s10, v12
	v_bitop3_b32 v0, v1, s17, v0 bitop3:0xc8
	s_nop 0
	v_cndmask_b32_e32 v4, v11, v8, vcc
	v_and_or_b32 v4, v9, s14, v4
	v_lshl_or_b32 v0, v4, 16, v0
	global_store_dword v[6:7], v0, off
	global_load_dword v4, v16, s[12:13] offset:3920
	v_lshrrev_b32_e32 v8, 16, v5
	v_lshl_add_u64 v[0:1], s[12:13], 0, v[16:17]
	v_add_co_u32_e32 v0, vcc, s0, v0
	s_waitcnt vmcnt(0)
	v_mul_f16_sdwa v9, v8, v4 dst_sel:DWORD dst_unused:UNUSED_PAD src0_sel:DWORD src1_sel:WORD_1
	v_mul_f16_sdwa v10, v5, v4 dst_sel:DWORD dst_unused:UNUSED_PAD src0_sel:DWORD src1_sel:WORD_1
	v_fma_f16 v5, v5, v4, v9
	v_fma_f16 v4, v4, v8, -v10
	v_cvt_f32_f16_e32 v8, v5
	v_cvt_f32_f16_e32 v9, v4
	v_mad_u64_u32 v[4:5], s[0:1], s8, v3, v[6:7]
	v_cvt_f64_f32_e32 v[6:7], v8
	v_cvt_f64_f32_e32 v[8:9], v9
	v_mul_f64 v[6:7], v[6:7], s[6:7]
	v_addc_co_u32_e32 v1, vcc, 0, v1, vcc
	v_mul_f64 v[8:9], v[8:9], s[6:7]
	v_and_or_b32 v6, v7, s16, v6
	v_and_or_b32 v8, v9, s16, v8
	v_cmp_ne_u32_e32 vcc, 0, v6
	v_lshrrev_b32_e32 v10, 8, v7
	v_bfe_u32 v11, v7, 20, 11
	v_cndmask_b32_e64 v6, 0, 1, vcc
	v_cmp_ne_u32_e32 vcc, 0, v8
	v_lshrrev_b32_e32 v12, 8, v9
	v_bfe_u32 v13, v9, 20, 11
	v_sub_u32_e32 v14, 0x3f1, v11
	v_cndmask_b32_e64 v8, 0, 1, vcc
	v_and_or_b32 v6, v10, s15, v6
	v_sub_u32_e32 v15, 0x3f1, v13
	v_med3_i32 v10, v14, 0, 13
	v_and_or_b32 v8, v12, s15, v8
	v_or_b32_e32 v14, 0x1000, v6
	v_add_u32_e32 v11, 0xfffffc10, v11
	v_med3_i32 v12, v15, 0, 13
	v_cmp_ne_u32_e32 vcc, 0, v6
	v_or_b32_e32 v16, 0x1000, v8
	v_lshrrev_b32_e32 v18, v10, v14
	v_add_u32_e32 v13, 0xfffffc10, v13
	v_lshl_or_b32 v15, v11, 12, v6
	v_cndmask_b32_e64 v6, 0, 1, vcc
	v_cmp_ne_u32_e32 vcc, 0, v8
	v_lshrrev_b32_e32 v20, v12, v16
	v_lshlrev_b32_e32 v10, v10, v18
	v_lshl_or_b32 v17, v13, 12, v8
	v_cndmask_b32_e64 v8, 0, 1, vcc
	v_lshlrev_b32_e32 v12, v12, v20
	v_cmp_ne_u32_e32 vcc, v10, v14
	v_lshl_or_b32 v6, v6, 9, v2
	v_lshl_or_b32 v8, v8, 9, v2
	v_cndmask_b32_e64 v10, 0, 1, vcc
	v_cmp_ne_u32_e32 vcc, v12, v16
	v_or_b32_e32 v10, v18, v10
	v_and_b32_sdwa v7, v7, s14 dst_sel:DWORD dst_unused:UNUSED_PAD src0_sel:WORD_1 src1_sel:DWORD
	v_cndmask_b32_e64 v12, 0, 1, vcc
	v_cmp_gt_i32_e32 vcc, 1, v11
	v_or_b32_e32 v12, v20, v12
	v_lshrrev_b32_e32 v9, 16, v9
	v_cndmask_b32_e32 v10, v15, v10, vcc
	v_cmp_gt_i32_e32 vcc, 1, v13
	v_and_b32_e32 v14, 7, v10
	v_cmp_eq_u32_e64 s[0:1], 3, v14
	v_cndmask_b32_e32 v12, v17, v12, vcc
	v_cmp_lt_i32_e32 vcc, 5, v14
	v_lshrrev_b32_e32 v10, 2, v10
	v_and_b32_e32 v15, 7, v12
	s_or_b64 vcc, s[0:1], vcc
	v_cmp_lt_i32_e64 s[2:3], 5, v15
	v_cmp_eq_u32_e64 s[4:5], 3, v15
	v_addc_co_u32_e32 v10, vcc, 0, v10, vcc
	v_lshrrev_b32_e32 v12, 2, v12
	s_or_b64 vcc, s[4:5], s[2:3]
	v_addc_co_u32_e32 v12, vcc, 0, v12, vcc
	v_cmp_gt_i32_e32 vcc, 31, v11
	v_add_u32_e32 v5, s9, v5
	s_nop 0
	v_cndmask_b32_e32 v10, v2, v10, vcc
	v_cmp_gt_i32_e32 vcc, 31, v13
	s_nop 1
	v_cndmask_b32_e32 v12, v2, v12, vcc
	v_cmp_eq_u32_e32 vcc, s10, v11
	s_nop 1
	v_cndmask_b32_e32 v6, v10, v6, vcc
	v_cmp_eq_u32_e32 vcc, s10, v13
	v_bitop3_b32 v6, v7, s17, v6 bitop3:0xc8
	s_nop 0
	v_cndmask_b32_e32 v8, v12, v8, vcc
	v_and_or_b32 v8, v9, s14, v8
	v_lshl_or_b32 v6, v8, 16, v6
	global_store_dword v[4:5], v6, off
	global_load_dword v8, v[0:1], off offset:216
	v_add_u32_e32 v6, 0x1000, v19
	ds_read2_b32 v[6:7], v6 offset0:54 offset1:152
	v_mad_u64_u32 v[4:5], s[0:1], s8, v3, v[4:5]
	v_add_u32_e32 v5, s9, v5
	s_waitcnt lgkmcnt(0)
	v_lshrrev_b32_e32 v9, 16, v6
	s_waitcnt vmcnt(0)
	v_mul_f16_sdwa v10, v9, v8 dst_sel:DWORD dst_unused:UNUSED_PAD src0_sel:DWORD src1_sel:WORD_1
	v_mul_f16_sdwa v11, v6, v8 dst_sel:DWORD dst_unused:UNUSED_PAD src0_sel:DWORD src1_sel:WORD_1
	v_fma_f16 v6, v6, v8, v10
	v_fma_f16 v8, v8, v9, -v11
	v_cvt_f32_f16_e32 v6, v6
	v_cvt_f32_f16_e32 v10, v8
	v_cvt_f64_f32_e32 v[8:9], v6
	v_cvt_f64_f32_e32 v[10:11], v10
	v_mul_f64 v[8:9], v[8:9], s[6:7]
	v_mul_f64 v[10:11], v[10:11], s[6:7]
	v_and_or_b32 v6, v9, s16, v8
	v_and_or_b32 v10, v11, s16, v10
	v_cmp_ne_u32_e32 vcc, 0, v6
	v_lshrrev_b32_e32 v8, 8, v9
	v_bfe_u32 v12, v9, 20, 11
	v_cndmask_b32_e64 v6, 0, 1, vcc
	v_cmp_ne_u32_e32 vcc, 0, v10
	v_lshrrev_b32_e32 v13, 8, v11
	v_bfe_u32 v14, v11, 20, 11
	v_sub_u32_e32 v15, 0x3f1, v12
	v_cndmask_b32_e64 v10, 0, 1, vcc
	v_and_or_b32 v6, v8, s15, v6
	v_sub_u32_e32 v16, 0x3f1, v14
	v_med3_i32 v8, v15, 0, 13
	v_and_or_b32 v10, v13, s15, v10
	v_or_b32_e32 v15, 0x1000, v6
	v_add_u32_e32 v12, 0xfffffc10, v12
	v_med3_i32 v13, v16, 0, 13
	v_cmp_ne_u32_e32 vcc, 0, v6
	v_or_b32_e32 v17, 0x1000, v10
	v_lshrrev_b32_e32 v20, v8, v15
	v_add_u32_e32 v14, 0xfffffc10, v14
	v_lshl_or_b32 v16, v12, 12, v6
	v_cndmask_b32_e64 v6, 0, 1, vcc
	v_cmp_ne_u32_e32 vcc, 0, v10
	v_lshrrev_b32_e32 v21, v13, v17
	v_lshlrev_b32_e32 v8, v8, v20
	v_lshl_or_b32 v18, v14, 12, v10
	v_cndmask_b32_e64 v10, 0, 1, vcc
	v_lshlrev_b32_e32 v13, v13, v21
	v_cmp_ne_u32_e32 vcc, v8, v15
	v_lshl_or_b32 v6, v6, 9, v2
	v_lshl_or_b32 v10, v10, 9, v2
	v_cndmask_b32_e64 v8, 0, 1, vcc
	v_cmp_ne_u32_e32 vcc, v13, v17
	v_or_b32_e32 v8, v20, v8
	v_and_b32_sdwa v9, v9, s14 dst_sel:DWORD dst_unused:UNUSED_PAD src0_sel:WORD_1 src1_sel:DWORD
	v_cndmask_b32_e64 v13, 0, 1, vcc
	v_cmp_gt_i32_e32 vcc, 1, v12
	v_or_b32_e32 v13, v21, v13
	v_lshrrev_b32_e32 v11, 16, v11
	v_cndmask_b32_e32 v8, v16, v8, vcc
	v_cmp_gt_i32_e32 vcc, 1, v14
	v_and_b32_e32 v15, 7, v8
	v_cmp_eq_u32_e64 s[0:1], 3, v15
	v_cndmask_b32_e32 v13, v18, v13, vcc
	v_cmp_lt_i32_e32 vcc, 5, v15
	v_lshrrev_b32_e32 v8, 2, v8
	v_and_b32_e32 v16, 7, v13
	s_or_b64 vcc, s[0:1], vcc
	v_cmp_lt_i32_e64 s[2:3], 5, v16
	v_cmp_eq_u32_e64 s[4:5], 3, v16
	v_addc_co_u32_e32 v8, vcc, 0, v8, vcc
	v_lshrrev_b32_e32 v13, 2, v13
	s_or_b64 vcc, s[4:5], s[2:3]
	v_addc_co_u32_e32 v13, vcc, 0, v13, vcc
	v_cmp_gt_i32_e32 vcc, 31, v12
	s_nop 1
	v_cndmask_b32_e32 v8, v2, v8, vcc
	v_cmp_gt_i32_e32 vcc, 31, v14
	s_nop 1
	v_cndmask_b32_e32 v13, v2, v13, vcc
	v_cmp_eq_u32_e32 vcc, s10, v12
	s_nop 1
	v_cndmask_b32_e32 v6, v8, v6, vcc
	v_cmp_eq_u32_e32 vcc, s10, v14
	v_bitop3_b32 v6, v9, s17, v6 bitop3:0xc8
	s_nop 0
	v_cndmask_b32_e32 v8, v13, v10, vcc
	v_and_or_b32 v8, v11, s14, v8
	v_lshl_or_b32 v6, v8, 16, v6
	global_store_dword v[4:5], v6, off
	global_load_dword v6, v[0:1], off offset:608
	v_lshrrev_b32_e32 v8, 16, v7
	v_mad_u64_u32 v[4:5], s[0:1], s8, v3, v[4:5]
	v_add_u32_e32 v5, s9, v5
	s_waitcnt vmcnt(0)
	v_mul_f16_sdwa v9, v8, v6 dst_sel:DWORD dst_unused:UNUSED_PAD src0_sel:DWORD src1_sel:WORD_1
	v_mul_f16_sdwa v10, v7, v6 dst_sel:DWORD dst_unused:UNUSED_PAD src0_sel:DWORD src1_sel:WORD_1
	v_fma_f16 v7, v7, v6, v9
	v_fma_f16 v6, v6, v8, -v10
	v_cvt_f32_f16_e32 v7, v7
	v_cvt_f32_f16_e32 v8, v6
	v_cvt_f64_f32_e32 v[6:7], v7
	v_cvt_f64_f32_e32 v[8:9], v8
	v_mul_f64 v[6:7], v[6:7], s[6:7]
	v_mul_f64 v[8:9], v[8:9], s[6:7]
	v_and_or_b32 v6, v7, s16, v6
	v_and_or_b32 v8, v9, s16, v8
	v_cmp_ne_u32_e32 vcc, 0, v6
	v_lshrrev_b32_e32 v10, 8, v7
	v_bfe_u32 v11, v7, 20, 11
	v_cndmask_b32_e64 v6, 0, 1, vcc
	v_cmp_ne_u32_e32 vcc, 0, v8
	v_lshrrev_b32_e32 v12, 8, v9
	v_bfe_u32 v13, v9, 20, 11
	v_sub_u32_e32 v14, 0x3f1, v11
	v_cndmask_b32_e64 v8, 0, 1, vcc
	v_and_or_b32 v6, v10, s15, v6
	v_sub_u32_e32 v15, 0x3f1, v13
	v_med3_i32 v10, v14, 0, 13
	v_and_or_b32 v8, v12, s15, v8
	v_or_b32_e32 v14, 0x1000, v6
	v_add_u32_e32 v11, 0xfffffc10, v11
	v_med3_i32 v12, v15, 0, 13
	v_cmp_ne_u32_e32 vcc, 0, v6
	v_or_b32_e32 v16, 0x1000, v8
	v_lshrrev_b32_e32 v18, v10, v14
	v_add_u32_e32 v13, 0xfffffc10, v13
	v_lshl_or_b32 v15, v11, 12, v6
	v_cndmask_b32_e64 v6, 0, 1, vcc
	v_cmp_ne_u32_e32 vcc, 0, v8
	v_lshrrev_b32_e32 v20, v12, v16
	v_lshlrev_b32_e32 v10, v10, v18
	v_lshl_or_b32 v17, v13, 12, v8
	v_cndmask_b32_e64 v8, 0, 1, vcc
	v_lshlrev_b32_e32 v12, v12, v20
	v_cmp_ne_u32_e32 vcc, v10, v14
	v_lshl_or_b32 v6, v6, 9, v2
	v_lshl_or_b32 v8, v8, 9, v2
	v_cndmask_b32_e64 v10, 0, 1, vcc
	v_cmp_ne_u32_e32 vcc, v12, v16
	v_or_b32_e32 v10, v18, v10
	v_and_b32_sdwa v7, v7, s14 dst_sel:DWORD dst_unused:UNUSED_PAD src0_sel:WORD_1 src1_sel:DWORD
	v_cndmask_b32_e64 v12, 0, 1, vcc
	v_cmp_gt_i32_e32 vcc, 1, v11
	v_or_b32_e32 v12, v20, v12
	v_lshrrev_b32_e32 v9, 16, v9
	v_cndmask_b32_e32 v10, v15, v10, vcc
	v_cmp_gt_i32_e32 vcc, 1, v13
	v_and_b32_e32 v14, 7, v10
	v_cmp_eq_u32_e64 s[0:1], 3, v14
	v_cndmask_b32_e32 v12, v17, v12, vcc
	v_cmp_lt_i32_e32 vcc, 5, v14
	v_lshrrev_b32_e32 v10, 2, v10
	v_and_b32_e32 v15, 7, v12
	s_or_b64 vcc, s[0:1], vcc
	v_cmp_lt_i32_e64 s[2:3], 5, v15
	v_cmp_eq_u32_e64 s[4:5], 3, v15
	v_addc_co_u32_e32 v10, vcc, 0, v10, vcc
	v_lshrrev_b32_e32 v12, 2, v12
	s_or_b64 vcc, s[4:5], s[2:3]
	v_addc_co_u32_e32 v12, vcc, 0, v12, vcc
	v_cmp_gt_i32_e32 vcc, 31, v11
	s_nop 1
	v_cndmask_b32_e32 v10, v2, v10, vcc
	v_cmp_gt_i32_e32 vcc, 31, v13
	s_nop 1
	v_cndmask_b32_e32 v12, v2, v12, vcc
	v_cmp_eq_u32_e32 vcc, s10, v11
	s_nop 1
	v_cndmask_b32_e32 v6, v10, v6, vcc
	v_cmp_eq_u32_e32 vcc, s10, v13
	v_bitop3_b32 v6, v7, s17, v6 bitop3:0xc8
	s_nop 0
	v_cndmask_b32_e32 v8, v12, v8, vcc
	v_and_or_b32 v8, v9, s14, v8
	v_lshl_or_b32 v6, v8, 16, v6
	global_store_dword v[4:5], v6, off
	global_load_dword v8, v[0:1], off offset:1000
	v_add_u32_e32 v6, 0x1200, v19
	ds_read2_b32 v[6:7], v6 offset0:122 offset1:220
	v_mad_u64_u32 v[4:5], s[0:1], s8, v3, v[4:5]
	v_add_u32_e32 v5, s9, v5
	s_waitcnt lgkmcnt(0)
	v_lshrrev_b32_e32 v9, 16, v6
	s_waitcnt vmcnt(0)
	v_mul_f16_sdwa v10, v9, v8 dst_sel:DWORD dst_unused:UNUSED_PAD src0_sel:DWORD src1_sel:WORD_1
	v_mul_f16_sdwa v11, v6, v8 dst_sel:DWORD dst_unused:UNUSED_PAD src0_sel:DWORD src1_sel:WORD_1
	v_fma_f16 v6, v6, v8, v10
	v_fma_f16 v8, v8, v9, -v11
	v_cvt_f32_f16_e32 v6, v6
	v_cvt_f32_f16_e32 v10, v8
	v_cvt_f64_f32_e32 v[8:9], v6
	v_cvt_f64_f32_e32 v[10:11], v10
	v_mul_f64 v[8:9], v[8:9], s[6:7]
	v_mul_f64 v[10:11], v[10:11], s[6:7]
	v_and_or_b32 v6, v9, s16, v8
	v_and_or_b32 v10, v11, s16, v10
	v_cmp_ne_u32_e32 vcc, 0, v6
	v_lshrrev_b32_e32 v8, 8, v9
	v_bfe_u32 v12, v9, 20, 11
	v_cndmask_b32_e64 v6, 0, 1, vcc
	v_cmp_ne_u32_e32 vcc, 0, v10
	v_lshrrev_b32_e32 v13, 8, v11
	v_bfe_u32 v14, v11, 20, 11
	v_sub_u32_e32 v15, 0x3f1, v12
	v_cndmask_b32_e64 v10, 0, 1, vcc
	v_and_or_b32 v6, v8, s15, v6
	v_sub_u32_e32 v16, 0x3f1, v14
	v_med3_i32 v8, v15, 0, 13
	v_and_or_b32 v10, v13, s15, v10
	v_or_b32_e32 v15, 0x1000, v6
	v_add_u32_e32 v12, 0xfffffc10, v12
	v_med3_i32 v13, v16, 0, 13
	v_cmp_ne_u32_e32 vcc, 0, v6
	v_or_b32_e32 v17, 0x1000, v10
	v_lshrrev_b32_e32 v20, v8, v15
	v_add_u32_e32 v14, 0xfffffc10, v14
	v_lshl_or_b32 v16, v12, 12, v6
	v_cndmask_b32_e64 v6, 0, 1, vcc
	v_cmp_ne_u32_e32 vcc, 0, v10
	v_lshrrev_b32_e32 v21, v13, v17
	v_lshlrev_b32_e32 v8, v8, v20
	v_lshl_or_b32 v18, v14, 12, v10
	v_cndmask_b32_e64 v10, 0, 1, vcc
	v_lshlrev_b32_e32 v13, v13, v21
	v_cmp_ne_u32_e32 vcc, v8, v15
	v_lshl_or_b32 v6, v6, 9, v2
	v_lshl_or_b32 v10, v10, 9, v2
	v_cndmask_b32_e64 v8, 0, 1, vcc
	v_cmp_ne_u32_e32 vcc, v13, v17
	v_or_b32_e32 v8, v20, v8
	v_and_b32_sdwa v9, v9, s14 dst_sel:DWORD dst_unused:UNUSED_PAD src0_sel:WORD_1 src1_sel:DWORD
	v_cndmask_b32_e64 v13, 0, 1, vcc
	v_cmp_gt_i32_e32 vcc, 1, v12
	v_or_b32_e32 v13, v21, v13
	v_lshrrev_b32_e32 v11, 16, v11
	v_cndmask_b32_e32 v8, v16, v8, vcc
	v_cmp_gt_i32_e32 vcc, 1, v14
	v_and_b32_e32 v15, 7, v8
	v_cmp_eq_u32_e64 s[0:1], 3, v15
	v_cndmask_b32_e32 v13, v18, v13, vcc
	v_cmp_lt_i32_e32 vcc, 5, v15
	v_lshrrev_b32_e32 v8, 2, v8
	v_and_b32_e32 v16, 7, v13
	s_or_b64 vcc, s[0:1], vcc
	v_cmp_lt_i32_e64 s[2:3], 5, v16
	v_cmp_eq_u32_e64 s[4:5], 3, v16
	v_addc_co_u32_e32 v8, vcc, 0, v8, vcc
	v_lshrrev_b32_e32 v13, 2, v13
	s_or_b64 vcc, s[4:5], s[2:3]
	v_addc_co_u32_e32 v13, vcc, 0, v13, vcc
	v_cmp_gt_i32_e32 vcc, 31, v12
	s_nop 1
	v_cndmask_b32_e32 v8, v2, v8, vcc
	v_cmp_gt_i32_e32 vcc, 31, v14
	s_nop 1
	v_cndmask_b32_e32 v13, v2, v13, vcc
	v_cmp_eq_u32_e32 vcc, s10, v12
	s_nop 1
	v_cndmask_b32_e32 v6, v8, v6, vcc
	v_cmp_eq_u32_e32 vcc, s10, v14
	v_bitop3_b32 v6, v9, s17, v6 bitop3:0xc8
	s_nop 0
	v_cndmask_b32_e32 v8, v13, v10, vcc
	v_and_or_b32 v8, v11, s14, v8
	v_lshl_or_b32 v6, v8, 16, v6
	global_store_dword v[4:5], v6, off
	global_load_dword v6, v[0:1], off offset:1392
	v_lshrrev_b32_e32 v8, 16, v7
	v_mad_u64_u32 v[4:5], s[0:1], s8, v3, v[4:5]
	v_add_u32_e32 v5, s9, v5
	s_waitcnt vmcnt(0)
	v_mul_f16_sdwa v9, v8, v6 dst_sel:DWORD dst_unused:UNUSED_PAD src0_sel:DWORD src1_sel:WORD_1
	v_mul_f16_sdwa v10, v7, v6 dst_sel:DWORD dst_unused:UNUSED_PAD src0_sel:DWORD src1_sel:WORD_1
	v_fma_f16 v7, v7, v6, v9
	v_fma_f16 v6, v6, v8, -v10
	v_cvt_f32_f16_e32 v7, v7
	v_cvt_f32_f16_e32 v8, v6
	v_cvt_f64_f32_e32 v[6:7], v7
	v_cvt_f64_f32_e32 v[8:9], v8
	v_mul_f64 v[6:7], v[6:7], s[6:7]
	v_mul_f64 v[8:9], v[8:9], s[6:7]
	v_and_or_b32 v6, v7, s16, v6
	v_and_or_b32 v8, v9, s16, v8
	v_cmp_ne_u32_e32 vcc, 0, v6
	v_lshrrev_b32_e32 v10, 8, v7
	v_bfe_u32 v11, v7, 20, 11
	v_cndmask_b32_e64 v6, 0, 1, vcc
	v_cmp_ne_u32_e32 vcc, 0, v8
	v_lshrrev_b32_e32 v12, 8, v9
	v_bfe_u32 v13, v9, 20, 11
	v_sub_u32_e32 v14, 0x3f1, v11
	v_cndmask_b32_e64 v8, 0, 1, vcc
	v_and_or_b32 v6, v10, s15, v6
	v_sub_u32_e32 v15, 0x3f1, v13
	v_med3_i32 v10, v14, 0, 13
	v_and_or_b32 v8, v12, s15, v8
	v_or_b32_e32 v14, 0x1000, v6
	v_add_u32_e32 v11, 0xfffffc10, v11
	v_med3_i32 v12, v15, 0, 13
	v_cmp_ne_u32_e32 vcc, 0, v6
	v_or_b32_e32 v16, 0x1000, v8
	v_lshrrev_b32_e32 v18, v10, v14
	v_add_u32_e32 v13, 0xfffffc10, v13
	v_lshl_or_b32 v15, v11, 12, v6
	v_cndmask_b32_e64 v6, 0, 1, vcc
	v_cmp_ne_u32_e32 vcc, 0, v8
	v_lshrrev_b32_e32 v20, v12, v16
	v_lshlrev_b32_e32 v10, v10, v18
	v_lshl_or_b32 v17, v13, 12, v8
	v_cndmask_b32_e64 v8, 0, 1, vcc
	v_lshlrev_b32_e32 v12, v12, v20
	v_cmp_ne_u32_e32 vcc, v10, v14
	v_lshl_or_b32 v6, v6, 9, v2
	v_lshl_or_b32 v8, v8, 9, v2
	v_cndmask_b32_e64 v10, 0, 1, vcc
	v_cmp_ne_u32_e32 vcc, v12, v16
	v_or_b32_e32 v10, v18, v10
	v_and_b32_sdwa v7, v7, s14 dst_sel:DWORD dst_unused:UNUSED_PAD src0_sel:WORD_1 src1_sel:DWORD
	v_cndmask_b32_e64 v12, 0, 1, vcc
	v_cmp_gt_i32_e32 vcc, 1, v11
	v_or_b32_e32 v12, v20, v12
	v_lshrrev_b32_e32 v9, 16, v9
	v_cndmask_b32_e32 v10, v15, v10, vcc
	v_cmp_gt_i32_e32 vcc, 1, v13
	v_and_b32_e32 v14, 7, v10
	v_cmp_eq_u32_e64 s[0:1], 3, v14
	v_cndmask_b32_e32 v12, v17, v12, vcc
	v_cmp_lt_i32_e32 vcc, 5, v14
	v_lshrrev_b32_e32 v10, 2, v10
	v_and_b32_e32 v15, 7, v12
	s_or_b64 vcc, s[0:1], vcc
	v_cmp_lt_i32_e64 s[2:3], 5, v15
	v_cmp_eq_u32_e64 s[4:5], 3, v15
	v_addc_co_u32_e32 v10, vcc, 0, v10, vcc
	v_lshrrev_b32_e32 v12, 2, v12
	s_or_b64 vcc, s[4:5], s[2:3]
	v_addc_co_u32_e32 v12, vcc, 0, v12, vcc
	v_cmp_gt_i32_e32 vcc, 31, v11
	s_nop 1
	v_cndmask_b32_e32 v10, v2, v10, vcc
	v_cmp_gt_i32_e32 vcc, 31, v13
	s_nop 1
	v_cndmask_b32_e32 v12, v2, v12, vcc
	v_cmp_eq_u32_e32 vcc, s10, v11
	s_nop 1
	v_cndmask_b32_e32 v6, v10, v6, vcc
	v_cmp_eq_u32_e32 vcc, s10, v13
	v_bitop3_b32 v6, v7, s17, v6 bitop3:0xc8
	s_nop 0
	v_cndmask_b32_e32 v8, v12, v8, vcc
	v_and_or_b32 v8, v9, s14, v8
	v_lshl_or_b32 v6, v8, 16, v6
	global_store_dword v[4:5], v6, off
	global_load_dword v8, v[0:1], off offset:1784
	v_add_u32_e32 v6, 0x1600, v19
	ds_read2_b32 v[6:7], v6 offset0:62 offset1:160
	v_mad_u64_u32 v[4:5], s[0:1], s8, v3, v[4:5]
	v_add_u32_e32 v5, s9, v5
	s_waitcnt lgkmcnt(0)
	v_lshrrev_b32_e32 v9, 16, v6
	s_waitcnt vmcnt(0)
	v_mul_f16_sdwa v10, v9, v8 dst_sel:DWORD dst_unused:UNUSED_PAD src0_sel:DWORD src1_sel:WORD_1
	v_mul_f16_sdwa v11, v6, v8 dst_sel:DWORD dst_unused:UNUSED_PAD src0_sel:DWORD src1_sel:WORD_1
	v_fma_f16 v6, v6, v8, v10
	v_fma_f16 v8, v8, v9, -v11
	v_cvt_f32_f16_e32 v6, v6
	v_cvt_f32_f16_e32 v10, v8
	v_cvt_f64_f32_e32 v[8:9], v6
	v_cvt_f64_f32_e32 v[10:11], v10
	v_mul_f64 v[8:9], v[8:9], s[6:7]
	v_mul_f64 v[10:11], v[10:11], s[6:7]
	v_and_or_b32 v6, v9, s16, v8
	v_and_or_b32 v10, v11, s16, v10
	v_cmp_ne_u32_e32 vcc, 0, v6
	v_lshrrev_b32_e32 v8, 8, v9
	v_bfe_u32 v12, v9, 20, 11
	v_cndmask_b32_e64 v6, 0, 1, vcc
	v_cmp_ne_u32_e32 vcc, 0, v10
	v_lshrrev_b32_e32 v13, 8, v11
	v_bfe_u32 v14, v11, 20, 11
	v_sub_u32_e32 v15, 0x3f1, v12
	v_cndmask_b32_e64 v10, 0, 1, vcc
	v_and_or_b32 v6, v8, s15, v6
	v_sub_u32_e32 v16, 0x3f1, v14
	v_med3_i32 v8, v15, 0, 13
	v_and_or_b32 v10, v13, s15, v10
	v_or_b32_e32 v15, 0x1000, v6
	v_add_u32_e32 v12, 0xfffffc10, v12
	v_med3_i32 v13, v16, 0, 13
	v_cmp_ne_u32_e32 vcc, 0, v6
	v_or_b32_e32 v17, 0x1000, v10
	v_lshrrev_b32_e32 v19, v8, v15
	v_add_u32_e32 v14, 0xfffffc10, v14
	v_lshl_or_b32 v16, v12, 12, v6
	v_cndmask_b32_e64 v6, 0, 1, vcc
	v_cmp_ne_u32_e32 vcc, 0, v10
	v_lshrrev_b32_e32 v20, v13, v17
	v_lshlrev_b32_e32 v8, v8, v19
	v_lshl_or_b32 v18, v14, 12, v10
	v_cndmask_b32_e64 v10, 0, 1, vcc
	v_lshlrev_b32_e32 v13, v13, v20
	v_cmp_ne_u32_e32 vcc, v8, v15
	v_lshl_or_b32 v6, v6, 9, v2
	v_lshl_or_b32 v10, v10, 9, v2
	v_cndmask_b32_e64 v8, 0, 1, vcc
	v_cmp_ne_u32_e32 vcc, v13, v17
	v_or_b32_e32 v8, v19, v8
	v_and_b32_sdwa v9, v9, s14 dst_sel:DWORD dst_unused:UNUSED_PAD src0_sel:WORD_1 src1_sel:DWORD
	v_cndmask_b32_e64 v13, 0, 1, vcc
	v_cmp_gt_i32_e32 vcc, 1, v12
	v_or_b32_e32 v13, v20, v13
	v_lshrrev_b32_e32 v11, 16, v11
	v_cndmask_b32_e32 v8, v16, v8, vcc
	v_cmp_gt_i32_e32 vcc, 1, v14
	v_and_b32_e32 v15, 7, v8
	v_cmp_eq_u32_e64 s[0:1], 3, v15
	v_cndmask_b32_e32 v13, v18, v13, vcc
	v_cmp_lt_i32_e32 vcc, 5, v15
	v_lshrrev_b32_e32 v8, 2, v8
	v_and_b32_e32 v16, 7, v13
	s_or_b64 vcc, s[0:1], vcc
	v_cmp_lt_i32_e64 s[2:3], 5, v16
	v_cmp_eq_u32_e64 s[4:5], 3, v16
	v_addc_co_u32_e32 v8, vcc, 0, v8, vcc
	v_lshrrev_b32_e32 v13, 2, v13
	s_or_b64 vcc, s[4:5], s[2:3]
	v_addc_co_u32_e32 v13, vcc, 0, v13, vcc
	v_cmp_gt_i32_e32 vcc, 31, v12
	s_nop 1
	v_cndmask_b32_e32 v8, v2, v8, vcc
	v_cmp_gt_i32_e32 vcc, 31, v14
	s_nop 1
	v_cndmask_b32_e32 v13, v2, v13, vcc
	v_cmp_eq_u32_e32 vcc, s10, v12
	s_nop 1
	v_cndmask_b32_e32 v6, v8, v6, vcc
	v_cmp_eq_u32_e32 vcc, s10, v14
	v_bitop3_b32 v6, v9, s17, v6 bitop3:0xc8
	s_nop 0
	v_cndmask_b32_e32 v8, v13, v10, vcc
	v_and_or_b32 v8, v11, s14, v8
	v_lshl_or_b32 v6, v8, 16, v6
	global_store_dword v[4:5], v6, off
	global_load_dword v0, v[0:1], off offset:2176
	v_lshrrev_b32_e32 v1, 16, v7
	s_waitcnt vmcnt(0)
	v_mul_f16_sdwa v6, v1, v0 dst_sel:DWORD dst_unused:UNUSED_PAD src0_sel:DWORD src1_sel:WORD_1
	v_mul_f16_sdwa v8, v7, v0 dst_sel:DWORD dst_unused:UNUSED_PAD src0_sel:DWORD src1_sel:WORD_1
	v_fma_f16 v6, v7, v0, v6
	v_fma_f16 v0, v0, v1, -v8
	v_cvt_f32_f16_e32 v6, v6
	v_cvt_f32_f16_e32 v7, v0
	v_mad_u64_u32 v[0:1], s[0:1], s8, v3, v[4:5]
	v_cvt_f64_f32_e32 v[4:5], v6
	v_cvt_f64_f32_e32 v[6:7], v7
	v_mul_f64 v[4:5], v[4:5], s[6:7]
	v_mul_f64 v[6:7], v[6:7], s[6:7]
	v_and_or_b32 v3, v5, s16, v4
	v_and_or_b32 v6, v7, s16, v6
	v_cmp_ne_u32_e32 vcc, 0, v3
	v_lshrrev_b32_e32 v4, 8, v5
	v_bfe_u32 v8, v5, 20, 11
	v_cndmask_b32_e64 v3, 0, 1, vcc
	v_cmp_ne_u32_e32 vcc, 0, v6
	v_lshrrev_b32_e32 v9, 8, v7
	v_bfe_u32 v10, v7, 20, 11
	v_sub_u32_e32 v11, 0x3f1, v8
	v_cndmask_b32_e64 v6, 0, 1, vcc
	v_and_or_b32 v3, v4, s15, v3
	v_sub_u32_e32 v12, 0x3f1, v10
	v_med3_i32 v4, v11, 0, 13
	v_and_or_b32 v6, v9, s15, v6
	v_or_b32_e32 v11, 0x1000, v3
	v_add_u32_e32 v8, 0xfffffc10, v8
	v_med3_i32 v9, v12, 0, 13
	v_cmp_ne_u32_e32 vcc, 0, v3
	v_or_b32_e32 v13, 0x1000, v6
	v_lshrrev_b32_e32 v15, v4, v11
	v_add_u32_e32 v10, 0xfffffc10, v10
	v_lshl_or_b32 v12, v8, 12, v3
	v_cndmask_b32_e64 v3, 0, 1, vcc
	v_cmp_ne_u32_e32 vcc, 0, v6
	v_lshrrev_b32_e32 v16, v9, v13
	v_lshlrev_b32_e32 v4, v4, v15
	v_lshl_or_b32 v14, v10, 12, v6
	v_cndmask_b32_e64 v6, 0, 1, vcc
	v_lshlrev_b32_e32 v9, v9, v16
	v_cmp_ne_u32_e32 vcc, v4, v11
	v_lshl_or_b32 v3, v3, 9, v2
	v_lshl_or_b32 v6, v6, 9, v2
	v_cndmask_b32_e64 v4, 0, 1, vcc
	v_cmp_ne_u32_e32 vcc, v9, v13
	v_or_b32_e32 v4, v15, v4
	v_and_b32_sdwa v5, v5, s14 dst_sel:DWORD dst_unused:UNUSED_PAD src0_sel:WORD_1 src1_sel:DWORD
	v_cndmask_b32_e64 v9, 0, 1, vcc
	v_cmp_gt_i32_e32 vcc, 1, v8
	v_or_b32_e32 v9, v16, v9
	v_lshrrev_b32_e32 v7, 16, v7
	v_cndmask_b32_e32 v4, v12, v4, vcc
	v_cmp_gt_i32_e32 vcc, 1, v10
	v_and_b32_e32 v11, 7, v4
	v_cmp_eq_u32_e64 s[0:1], 3, v11
	v_cndmask_b32_e32 v9, v14, v9, vcc
	v_cmp_lt_i32_e32 vcc, 5, v11
	v_lshrrev_b32_e32 v4, 2, v4
	v_and_b32_e32 v12, 7, v9
	s_or_b64 vcc, s[0:1], vcc
	v_cmp_lt_i32_e64 s[2:3], 5, v12
	v_cmp_eq_u32_e64 s[4:5], 3, v12
	v_addc_co_u32_e32 v4, vcc, 0, v4, vcc
	v_lshrrev_b32_e32 v9, 2, v9
	s_or_b64 vcc, s[4:5], s[2:3]
	v_addc_co_u32_e32 v9, vcc, 0, v9, vcc
	v_cmp_gt_i32_e32 vcc, 31, v8
	v_add_u32_e32 v1, s9, v1
	s_nop 0
	v_cndmask_b32_e32 v4, v2, v4, vcc
	v_cmp_gt_i32_e32 vcc, 31, v10
	s_nop 1
	v_cndmask_b32_e32 v2, v2, v9, vcc
	v_cmp_eq_u32_e32 vcc, s10, v8
	s_nop 1
	v_cndmask_b32_e32 v3, v4, v3, vcc
	v_cmp_eq_u32_e32 vcc, s10, v10
	v_bitop3_b32 v3, v5, s17, v3 bitop3:0xc8
	s_nop 0
	v_cndmask_b32_e32 v2, v2, v6, vcc
	v_and_or_b32 v2, v7, s14, v2
	v_lshl_or_b32 v2, v2, 16, v3
	global_store_dword v[0:1], v2, off
.LBB0_15:
	s_endpgm
	.section	.rodata,"a",@progbits
	.p2align	6, 0x0
	.amdhsa_kernel bluestein_single_back_len1666_dim1_half_op_CI_CI
		.amdhsa_group_segment_fixed_size 6664
		.amdhsa_private_segment_fixed_size 0
		.amdhsa_kernarg_size 104
		.amdhsa_user_sgpr_count 2
		.amdhsa_user_sgpr_dispatch_ptr 0
		.amdhsa_user_sgpr_queue_ptr 0
		.amdhsa_user_sgpr_kernarg_segment_ptr 1
		.amdhsa_user_sgpr_dispatch_id 0
		.amdhsa_user_sgpr_kernarg_preload_length 0
		.amdhsa_user_sgpr_kernarg_preload_offset 0
		.amdhsa_user_sgpr_private_segment_size 0
		.amdhsa_uses_dynamic_stack 0
		.amdhsa_enable_private_segment 0
		.amdhsa_system_sgpr_workgroup_id_x 1
		.amdhsa_system_sgpr_workgroup_id_y 0
		.amdhsa_system_sgpr_workgroup_id_z 0
		.amdhsa_system_sgpr_workgroup_info 0
		.amdhsa_system_vgpr_workitem_id 0
		.amdhsa_next_free_vgpr 206
		.amdhsa_next_free_sgpr 37
		.amdhsa_accum_offset 208
		.amdhsa_reserve_vcc 1
		.amdhsa_float_round_mode_32 0
		.amdhsa_float_round_mode_16_64 0
		.amdhsa_float_denorm_mode_32 3
		.amdhsa_float_denorm_mode_16_64 3
		.amdhsa_dx10_clamp 1
		.amdhsa_ieee_mode 1
		.amdhsa_fp16_overflow 0
		.amdhsa_tg_split 0
		.amdhsa_exception_fp_ieee_invalid_op 0
		.amdhsa_exception_fp_denorm_src 0
		.amdhsa_exception_fp_ieee_div_zero 0
		.amdhsa_exception_fp_ieee_overflow 0
		.amdhsa_exception_fp_ieee_underflow 0
		.amdhsa_exception_fp_ieee_inexact 0
		.amdhsa_exception_int_div_zero 0
	.end_amdhsa_kernel
	.text
.Lfunc_end0:
	.size	bluestein_single_back_len1666_dim1_half_op_CI_CI, .Lfunc_end0-bluestein_single_back_len1666_dim1_half_op_CI_CI
                                        ; -- End function
	.section	.AMDGPU.csdata,"",@progbits
; Kernel info:
; codeLenInByte = 30620
; NumSgprs: 43
; NumVgprs: 206
; NumAgprs: 0
; TotalNumVgprs: 206
; ScratchSize: 0
; MemoryBound: 0
; FloatMode: 240
; IeeeMode: 1
; LDSByteSize: 6664 bytes/workgroup (compile time only)
; SGPRBlocks: 5
; VGPRBlocks: 25
; NumSGPRsForWavesPerEU: 43
; NumVGPRsForWavesPerEU: 206
; AccumOffset: 208
; Occupancy: 2
; WaveLimiterHint : 1
; COMPUTE_PGM_RSRC2:SCRATCH_EN: 0
; COMPUTE_PGM_RSRC2:USER_SGPR: 2
; COMPUTE_PGM_RSRC2:TRAP_HANDLER: 0
; COMPUTE_PGM_RSRC2:TGID_X_EN: 1
; COMPUTE_PGM_RSRC2:TGID_Y_EN: 0
; COMPUTE_PGM_RSRC2:TGID_Z_EN: 0
; COMPUTE_PGM_RSRC2:TIDIG_COMP_CNT: 0
; COMPUTE_PGM_RSRC3_GFX90A:ACCUM_OFFSET: 51
; COMPUTE_PGM_RSRC3_GFX90A:TG_SPLIT: 0
	.text
	.p2alignl 6, 3212836864
	.fill 256, 4, 3212836864
	.type	__hip_cuid_50e4cb1fd54ed092,@object ; @__hip_cuid_50e4cb1fd54ed092
	.section	.bss,"aw",@nobits
	.globl	__hip_cuid_50e4cb1fd54ed092
__hip_cuid_50e4cb1fd54ed092:
	.byte	0                               ; 0x0
	.size	__hip_cuid_50e4cb1fd54ed092, 1

	.ident	"AMD clang version 19.0.0git (https://github.com/RadeonOpenCompute/llvm-project roc-6.4.0 25133 c7fe45cf4b819c5991fe208aaa96edf142730f1d)"
	.section	".note.GNU-stack","",@progbits
	.addrsig
	.addrsig_sym __hip_cuid_50e4cb1fd54ed092
	.amdgpu_metadata
---
amdhsa.kernels:
  - .agpr_count:     0
    .args:
      - .actual_access:  read_only
        .address_space:  global
        .offset:         0
        .size:           8
        .value_kind:     global_buffer
      - .actual_access:  read_only
        .address_space:  global
        .offset:         8
        .size:           8
        .value_kind:     global_buffer
      - .actual_access:  read_only
        .address_space:  global
        .offset:         16
        .size:           8
        .value_kind:     global_buffer
      - .actual_access:  read_only
        .address_space:  global
        .offset:         24
        .size:           8
        .value_kind:     global_buffer
      - .actual_access:  read_only
        .address_space:  global
        .offset:         32
        .size:           8
        .value_kind:     global_buffer
      - .offset:         40
        .size:           8
        .value_kind:     by_value
      - .address_space:  global
        .offset:         48
        .size:           8
        .value_kind:     global_buffer
      - .address_space:  global
        .offset:         56
        .size:           8
        .value_kind:     global_buffer
      - .address_space:  global
        .offset:         64
        .size:           8
        .value_kind:     global_buffer
      - .address_space:  global
        .offset:         72
        .size:           8
        .value_kind:     global_buffer
      - .offset:         80
        .size:           4
        .value_kind:     by_value
      - .address_space:  global
        .offset:         88
        .size:           8
        .value_kind:     global_buffer
      - .address_space:  global
        .offset:         96
        .size:           8
        .value_kind:     global_buffer
    .group_segment_fixed_size: 6664
    .kernarg_segment_align: 8
    .kernarg_segment_size: 104
    .language:       OpenCL C
    .language_version:
      - 2
      - 0
    .max_flat_workgroup_size: 119
    .name:           bluestein_single_back_len1666_dim1_half_op_CI_CI
    .private_segment_fixed_size: 0
    .sgpr_count:     43
    .sgpr_spill_count: 0
    .symbol:         bluestein_single_back_len1666_dim1_half_op_CI_CI.kd
    .uniform_work_group_size: 1
    .uses_dynamic_stack: false
    .vgpr_count:     206
    .vgpr_spill_count: 0
    .wavefront_size: 64
amdhsa.target:   amdgcn-amd-amdhsa--gfx950
amdhsa.version:
  - 1
  - 2
...

	.end_amdgpu_metadata
